;; amdgpu-corpus repo=ROCm/rocFFT kind=compiled arch=gfx1030 opt=O3
	.text
	.amdgcn_target "amdgcn-amd-amdhsa--gfx1030"
	.amdhsa_code_object_version 6
	.protected	fft_rtc_fwd_len289_factors_17_17_wgs_119_tpt_17_half_op_CI_CI_sbrc_z_xy_aligned_dirReg ; -- Begin function fft_rtc_fwd_len289_factors_17_17_wgs_119_tpt_17_half_op_CI_CI_sbrc_z_xy_aligned_dirReg
	.globl	fft_rtc_fwd_len289_factors_17_17_wgs_119_tpt_17_half_op_CI_CI_sbrc_z_xy_aligned_dirReg
	.p2align	8
	.type	fft_rtc_fwd_len289_factors_17_17_wgs_119_tpt_17_half_op_CI_CI_sbrc_z_xy_aligned_dirReg,@function
fft_rtc_fwd_len289_factors_17_17_wgs_119_tpt_17_half_op_CI_CI_sbrc_z_xy_aligned_dirReg: ; @fft_rtc_fwd_len289_factors_17_17_wgs_119_tpt_17_half_op_CI_CI_sbrc_z_xy_aligned_dirReg
; %bb.0:
	s_load_dwordx8 s[8:15], s[4:5], 0x0
	v_mov_b32_e32 v1, 0xe3
	v_add_nc_u16 v3, v0, 0xee
	v_add_nc_u16 v4, v0, 0x165
	;; [unrolled: 1-line block ×6, first 2 shown]
	v_mul_u32_u24_sdwa v9, v3, v1 dst_sel:DWORD dst_unused:UNUSED_PAD src0_sel:WORD_0 src1_sel:DWORD
	v_mul_u32_u24_sdwa v13, v4, v1 dst_sel:DWORD dst_unused:UNUSED_PAD src0_sel:WORD_0 src1_sel:DWORD
	;; [unrolled: 1-line block ×6, first 2 shown]
	v_lshrrev_b32_e32 v12, 16, v9
	v_lshrrev_b32_e32 v13, 16, v13
	v_lshrrev_b32_e32 v16, 16, v15
	v_lshrrev_b32_e32 v14, 16, v14
	v_lshrrev_b32_e32 v18, 16, v1
	v_mul_lo_u16 v9, 0x121, v12
	s_waitcnt lgkmcnt(0)
	s_load_dwordx4 s[16:19], s[12:13], 0x8
	s_clause 0x1
	s_load_dwordx4 s[0:3], s[4:5], 0x58
	s_load_dwordx2 s[20:21], s[4:5], 0x20
	v_mul_lo_u16 v22, 0x121, v14
	v_mul_lo_u16 v23, 0x121, v16
	v_sub_nc_u16 v20, v3, v9
	v_lshrrev_b32_e32 v17, 16, v17
	v_mul_lo_u16 v25, 0x121, v18
	v_sub_nc_u16 v22, v5, v22
	v_sub_nc_u16 v23, v6, v23
	v_and_b32_e32 v31, 0xffff, v20
	v_mul_lo_u16 v24, 0x121, v17
	v_sub_nc_u16 v25, v8, v25
	v_and_b32_e32 v34, 0xffff, v22
	v_and_b32_e32 v36, 0xffff, v23
	v_mov_b32_e32 v11, 0x717
	v_sub_nc_u16 v24, v7, v24
	v_mov_b32_e32 v2, 0
	s_mov_b32 s13, 0
	v_add_nc_u16 v26, v0, 0x3b8
	v_and_b32_e32 v42, 0xffff, v25
	s_waitcnt lgkmcnt(0)
	s_add_i32 s4, s16, -1
	v_and_b32_e32 v38, 0xffff, v24
	s_mul_hi_u32 s5, s4, 0x24924925
	v_mul_u32_u24_sdwa v19, v26, v11 dst_sel:DWORD dst_unused:UNUSED_PAD src0_sel:WORD_0 src1_sel:DWORD
	s_sub_i32 s4, s4, s5
	v_add_nc_u16 v40, v0, 0x42f
	s_lshr_b32 s4, s4, 1
	v_add_nc_u16 v44, v0, 0x594
	s_add_i32 s4, s4, s5
	v_lshrrev_b32_e32 v19, 19, v19
	s_lshr_b32 s5, s4, 2
	v_add_nc_u16 v49, v0, 0x6f9
	s_add_i32 s4, s5, 1
	v_mul_u32_u24_sdwa v43, v44, v11 dst_sel:DWORD dst_unused:UNUSED_PAD src0_sel:WORD_0 src1_sel:DWORD
	s_mul_i32 s7, s4, s18
	v_cvt_f32_u32_e32 v15, s4
	v_cvt_f32_u32_e32 v10, s7
	s_clause 0x1
	s_load_dwordx4 s[16:19], s[14:15], 0x0
	s_load_dword s24, s[14:15], 0x10
	s_waitcnt lgkmcnt(0)
	s_sub_i32 s19, 0, s7
	v_rcp_iflag_f32_e32 v15, v15
	v_rcp_iflag_f32_e32 v10, v10
	v_mul_lo_u16 v41, 0x121, v19
	v_lshrrev_b32_e32 v64, 19, v43
	v_add_nc_u16 v52, v0, 0x770
	v_sub_nc_u16 v26, v26, v41
	v_mul_f32_e32 v1, 0x4f7ffffe, v10
	v_mul_lo_u16 v10, 0x121, v13
	v_cvt_u32_f32_e32 v1, v1
	v_sub_nc_u16 v21, v4, v10
	v_mad_u64_u32 v[3:4], null, s16, v31, 0
	v_mad_u64_u32 v[7:8], null, s16, v34, 0
	v_readfirstlane_b32 s12, v1
	v_mul_f32_e32 v1, 0x4f7ffffe, v15
	v_and_b32_e32 v33, 0xffff, v21
	v_mad_u64_u32 v[9:10], null, s16, v36, 0
	s_mul_i32 s19, s19, s12
	v_cvt_u32_f32_e32 v1, v1
	s_mul_hi_u32 s19, s12, s19
	v_mad_u64_u32 v[5:6], null, s16, v33, 0
	s_add_i32 s12, s12, s19
	v_readfirstlane_b32 s25, v1
	s_mul_hi_u32 s12, s6, s12
	v_mul_lo_u32 v1, s18, v12
	s_mul_i32 s19, s12, s7
	s_add_i32 s22, s12, 1
	s_sub_i32 s19, s6, s19
	v_mad_u64_u32 v[31:32], null, s17, v31, v[4:5]
	s_sub_i32 s23, s19, s7
	s_cmp_ge_u32 s19, s7
	v_mad_u64_u32 v[32:33], null, s17, v33, v[6:7]
	s_cselect_b32 s12, s22, s12
	s_cselect_b32 s19, s23, s19
	s_add_i32 s22, s12, 1
	s_cmp_ge_u32 s19, s7
	v_mad_u64_u32 v[33:34], null, s17, v34, v[8:9]
	s_cselect_b32 s22, s22, s12
	s_not_b32 s5, s5
	s_mul_i32 s7, s22, s7
	s_mul_i32 s5, s5, s25
	s_sub_i32 s7, s6, s7
	s_mul_hi_u32 s5, s25, s5
	v_mov_b32_e32 v4, v31
	s_add_i32 s25, s25, s5
	v_mad_u64_u32 v[36:37], null, s17, v36, v[10:11]
	s_mul_hi_u32 s5, s7, s25
	s_mul_hi_u32 s23, s6, s25
	s_mul_i32 s12, s5, s4
	v_mov_b32_e32 v6, v32
	s_sub_i32 s7, s7, s12
	s_add_i32 s12, s5, 1
	s_sub_i32 s19, s7, s4
	s_cmp_ge_u32 s7, s4
	v_lshlrev_b64 v[3:4], 2, v[3:4]
	s_cselect_b32 s5, s12, s5
	s_cselect_b32 s7, s19, s7
	s_add_i32 s12, s5, 1
	s_cmp_ge_u32 s7, s4
	s_mul_i32 s7, s23, s4
	s_cselect_b32 s23, s12, s5
	s_sub_i32 s5, s6, s7
	v_mov_b32_e32 v8, v33
	s_sub_i32 s6, s5, s4
	s_cmp_ge_u32 s5, s4
	v_lshlrev_b64 v[29:30], 2, v[1:2]
	s_cselect_b32 s5, s6, s5
	v_mul_lo_u32 v1, s18, v13
	s_sub_i32 s6, s5, s4
	s_cmp_ge_u32 s5, s4
	v_lshlrev_b64 v[5:6], 2, v[5:6]
	s_cselect_b32 s19, s6, s5
	s_mul_i32 s6, s23, s24
	s_mul_i32 s19, s19, 7
	s_lshl_b64 s[4:5], s[10:11], 3
	s_mul_i32 s7, s19, s18
	v_mov_b32_e32 v10, v36
	s_add_i32 s12, s7, s6
	s_add_u32 s6, s14, s4
	s_addc_u32 s7, s15, s5
	v_mad_u64_u32 v[27:28], null, s16, v38, 0
	s_load_dwordx2 s[6:7], s[6:7], 0x0
	v_lshlrev_b64 v[7:8], 2, v[7:8]
	v_lshlrev_b64 v[9:10], 2, v[9:10]
	;; [unrolled: 1-line block ×3, first 2 shown]
	v_mul_lo_u32 v1, s18, v14
	v_mov_b32_e32 v15, v28
	v_mad_u64_u32 v[37:38], null, s17, v38, v[15:16]
	v_lshlrev_b64 v[31:32], 2, v[1:2]
	v_mul_lo_u32 v1, s18, v16
	v_mad_u64_u32 v[38:39], null, s16, v42, 0
	v_mov_b32_e32 v28, v37
	s_waitcnt lgkmcnt(0)
	s_mul_i32 s7, s7, s22
	s_mul_hi_u32 s10, s6, s22
	s_mul_i32 s6, s6, s22
	s_add_i32 s7, s10, s7
	s_add_u32 s4, s20, s4
	s_addc_u32 s5, s21, s5
	v_lshlrev_b64 v[36:37], 2, v[1:2]
	s_load_dwordx2 s[10:11], s[4:5], 0x0
	s_lshl_b64 s[4:5], s[6:7], 2
	v_mul_lo_u32 v1, s18, v17
	v_mov_b32_e32 v15, v39
	s_waitcnt lgkmcnt(0)
	s_mul_i32 s11, s11, s22
	s_mul_hi_u32 s14, s10, s22
	s_mul_i32 s10, s10, s22
	s_add_i32 s11, s14, s11
	s_add_u32 s4, s0, s4
	s_addc_u32 s5, s1, s5
	s_lshl_b64 s[0:1], s[12:13], 2
	s_add_u32 s0, s4, s0
	s_addc_u32 s1, s5, s1
	v_add_co_u32 v3, vcc_lo, s0, v3
	v_add_co_ci_u32_e32 v4, vcc_lo, s1, v4, vcc_lo
	v_add_co_u32 v5, vcc_lo, s0, v5
	v_add_co_ci_u32_e32 v6, vcc_lo, s1, v6, vcc_lo
	;; [unrolled: 2-line block ×7, first 2 shown]
	v_mul_u32_u24_sdwa v32, v40, v11 dst_sel:DWORD dst_unused:UNUSED_PAD src0_sel:WORD_0 src1_sel:DWORD
	v_lshlrev_b64 v[28:29], 2, v[27:28]
	v_and_b32_e32 v35, 0xffff, v26
	v_lshlrev_b64 v[30:31], 2, v[1:2]
	v_add_co_u32 v9, vcc_lo, v9, v36
	v_lshrrev_b32_e32 v27, 19, v32
	v_mad_u64_u32 v[32:33], null, s17, v42, v[15:16]
	v_mad_u64_u32 v[33:34], null, s16, v35, 0
	v_mul_lo_u16 v1, 0x121, v27
	v_add_co_ci_u32_e32 v10, vcc_lo, v10, v37, vcc_lo
	v_add_co_u32 v15, vcc_lo, s0, v28
	v_sub_nc_u16 v28, v40, v1
	v_add_co_ci_u32_e32 v36, vcc_lo, s1, v29, vcc_lo
	v_mov_b32_e32 v39, v32
	v_add_co_u32 v29, vcc_lo, v15, v30
	v_mov_b32_e32 v15, v34
	v_and_b32_e32 v37, 0xffff, v28
	v_add_co_ci_u32_e32 v30, vcc_lo, v36, v31, vcc_lo
	v_lshlrev_b64 v[31:32], 2, v[38:39]
	v_add_nc_u16 v39, v0, 0x4a6
	v_mad_u64_u32 v[34:35], null, s17, v35, v[15:16]
	v_mad_u64_u32 v[35:36], null, s16, v37, 0
	v_mul_u32_u24_sdwa v38, v39, v11 dst_sel:DWORD dst_unused:UNUSED_PAD src0_sel:WORD_0 src1_sel:DWORD
	v_mul_lo_u32 v1, s18, v18
	v_add_co_u32 v40, vcc_lo, s0, v31
	v_add_co_ci_u32_e32 v41, vcc_lo, s1, v32, vcc_lo
	v_mov_b32_e32 v15, v36
	v_lshrrev_b32_e32 v60, 19, v38
	v_lshlrev_b64 v[33:34], 2, v[33:34]
	v_lshlrev_b64 v[31:32], 2, v[1:2]
	v_add_nc_u16 v42, v0, 0x51d
	v_mad_u64_u32 v[36:37], null, s17, v37, v[15:16]
	v_mul_lo_u16 v15, 0x121, v60
	v_mul_lo_u32 v1, s18, v19
	v_add_co_u32 v31, vcc_lo, v40, v31
	v_add_co_ci_u32_e32 v32, vcc_lo, v41, v32, vcc_lo
	v_sub_nc_u16 v61, v39, v15
	v_mul_u32_u24_sdwa v40, v42, v11 dst_sel:DWORD dst_unused:UNUSED_PAD src0_sel:WORD_0 src1_sel:DWORD
	v_add_co_u32 v15, vcc_lo, s0, v33
	v_add_co_ci_u32_e32 v39, vcc_lo, s1, v34, vcc_lo
	v_and_b32_e32 v41, 0xffff, v61
	v_lshlrev_b64 v[33:34], 2, v[35:36]
	v_lshlrev_b64 v[37:38], 2, v[1:2]
	v_lshrrev_b32_e32 v62, 19, v40
	v_mul_lo_u32 v1, s18, v27
	v_mad_u64_u32 v[35:36], null, s16, v41, 0
	v_mul_lo_u16 v40, 0x121, v62
	v_add_co_u32 v37, vcc_lo, v15, v37
	v_add_co_ci_u32_e32 v38, vcc_lo, v39, v38, vcc_lo
	v_mov_b32_e32 v15, v36
	v_sub_nc_u16 v63, v42, v40
	v_lshlrev_b64 v[39:40], 2, v[1:2]
	v_mul_lo_u16 v1, 0x121, v64
	v_mad_u64_u32 v[41:42], null, s17, v41, v[15:16]
	v_and_b32_e32 v45, 0xffff, v63
	v_sub_nc_u16 v65, v44, v1
	v_add_co_u32 v44, vcc_lo, s0, v33
	v_add_co_ci_u32_e32 v46, vcc_lo, s1, v34, vcc_lo
	v_mov_b32_e32 v36, v41
	v_add_nc_u16 v41, v0, 0x60b
	v_add_co_u32 v39, vcc_lo, v44, v39
	v_mad_u64_u32 v[42:43], null, s16, v45, 0
	v_add_co_ci_u32_e32 v40, vcc_lo, v46, v40, vcc_lo
	v_mul_u32_u24_sdwa v46, v41, v11 dst_sel:DWORD dst_unused:UNUSED_PAD src0_sel:WORD_0 src1_sel:DWORD
	v_and_b32_e32 v47, 0xffff, v65
	v_mul_lo_u32 v1, s18, v60
	v_lshlrev_b64 v[35:36], 2, v[35:36]
	v_mov_b32_e32 v15, v43
	v_lshrrev_b32_e32 v66, 19, v46
	v_mad_u64_u32 v[33:34], null, s16, v47, 0
	v_mad_u64_u32 v[43:44], null, s17, v45, v[15:16]
	v_mul_lo_u16 v46, 0x121, v66
	v_lshlrev_b64 v[44:45], 2, v[1:2]
	v_add_co_u32 v15, vcc_lo, s0, v35
	v_mov_b32_e32 v1, v34
	v_sub_nc_u16 v67, v41, v46
	v_add_co_ci_u32_e32 v36, vcc_lo, s1, v36, vcc_lo
	v_lshlrev_b64 v[41:42], 2, v[42:43]
	v_mad_u64_u32 v[34:35], null, s17, v47, v[1:2]
	v_add_nc_u16 v47, v0, 0x682
	v_and_b32_e32 v48, 0xffff, v67
	v_mul_lo_u32 v1, s18, v62
	v_add_co_u32 v35, vcc_lo, v15, v44
	v_mul_u32_u24_sdwa v15, v47, v11 dst_sel:DWORD dst_unused:UNUSED_PAD src0_sel:WORD_0 src1_sel:DWORD
	v_add_co_ci_u32_e32 v36, vcc_lo, v36, v45, vcc_lo
	v_mad_u64_u32 v[45:46], null, s16, v48, 0
	v_lshrrev_b32_e32 v68, 19, v15
	v_lshlrev_b64 v[43:44], 2, v[1:2]
	v_add_co_u32 v41, vcc_lo, s0, v41
	v_add_co_ci_u32_e32 v42, vcc_lo, s1, v42, vcc_lo
	v_mov_b32_e32 v15, v46
	v_mul_lo_u16 v46, 0x121, v68
	v_add_co_u32 v41, vcc_lo, v41, v43
	v_add_co_ci_u32_e32 v42, vcc_lo, v42, v44, vcc_lo
	v_mad_u64_u32 v[43:44], null, s17, v48, v[15:16]
	v_mul_u32_u24_sdwa v15, v49, v11 dst_sel:DWORD dst_unused:UNUSED_PAD src0_sel:WORD_0 src1_sel:DWORD
	v_sub_nc_u16 v69, v47, v46
	v_mul_lo_u32 v1, s18, v64
	v_lshlrev_b64 v[33:34], 2, v[33:34]
	v_lshrrev_b32_e32 v70, 19, v15
	v_and_b32_e32 v50, 0xffff, v69
	v_mov_b32_e32 v46, v43
	v_add_co_u32 v47, vcc_lo, s0, v33
	v_mul_lo_u16 v15, 0x121, v70
	v_mad_u64_u32 v[43:44], null, s16, v50, 0
	v_add_co_ci_u32_e32 v48, vcc_lo, s1, v34, vcc_lo
	v_lshlrev_b64 v[33:34], 2, v[1:2]
	v_mul_lo_u32 v1, s18, v66
	v_sub_nc_u16 v71, v49, v15
	v_lshlrev_b64 v[45:46], 2, v[45:46]
	v_mov_b32_e32 v15, v44
	v_add_co_u32 v33, vcc_lo, v47, v33
	v_and_b32_e32 v53, 0xffff, v71
	v_add_co_ci_u32_e32 v34, vcc_lo, v48, v34, vcc_lo
	v_lshlrev_b64 v[47:48], 2, v[1:2]
	v_mul_u32_u24_sdwa v1, v52, v11 dst_sel:DWORD dst_unused:UNUSED_PAD src0_sel:WORD_0 src1_sel:DWORD
	v_mad_u64_u32 v[49:50], null, s17, v50, v[15:16]
	v_mad_u64_u32 v[50:51], null, s16, v53, 0
	v_lshrrev_b32_e32 v72, 19, v1
	v_add_co_u32 v1, vcc_lo, s0, v45
	v_add_co_ci_u32_e32 v11, vcc_lo, s1, v46, vcc_lo
	v_mov_b32_e32 v44, v49
	v_add_co_u32 v45, vcc_lo, v1, v47
	v_mov_b32_e32 v1, v51
	v_add_co_ci_u32_e32 v46, vcc_lo, v11, v48, vcc_lo
	v_add_nc_u16 v11, v0, 0x77
	v_mul_lo_u16 v15, 0x121, v72
	v_mad_u64_u32 v[47:48], null, s17, v53, v[1:2]
	v_mad_u64_u32 v[48:49], null, s16, v0, 0
	v_and_b32_e32 v56, 0xffff, v11
	v_sub_nc_u16 v73, v52, v15
	v_lshlrev_b64 v[43:44], 2, v[43:44]
	v_mul_lo_u32 v1, s18, v68
	v_mov_b32_e32 v51, v47
	v_mad_u64_u32 v[54:55], null, s16, v56, 0
	v_mov_b32_e32 v11, v49
	v_and_b32_e32 v58, 0xffff, v73
	v_add_co_u32 v74, vcc_lo, s0, v43
	v_add_co_ci_u32_e32 v75, vcc_lo, s1, v44, vcc_lo
	v_mad_u64_u32 v[43:44], null, s17, v0, v[11:12]
	v_mad_u64_u32 v[52:53], null, s16, v58, 0
	v_mov_b32_e32 v15, v55
	v_mov_b32_e32 v49, v43
	v_mad_u64_u32 v[55:56], null, s17, v56, v[15:16]
	v_mov_b32_e32 v11, v53
	v_lshlrev_b64 v[56:57], 2, v[1:2]
	v_lshlrev_b64 v[47:48], 2, v[48:49]
	v_mul_lo_u32 v1, s18, v70
	v_lshlrev_b64 v[49:50], 2, v[50:51]
	v_mad_u64_u32 v[58:59], null, s17, v58, v[11:12]
	v_add_co_u32 v43, vcc_lo, v74, v56
	v_lshlrev_b64 v[54:55], 2, v[54:55]
	v_add_co_ci_u32_e32 v44, vcc_lo, v75, v57, vcc_lo
	v_add_co_u32 v47, vcc_lo, s0, v47
	v_add_co_ci_u32_e32 v48, vcc_lo, s1, v48, vcc_lo
	v_add_co_u32 v54, vcc_lo, s0, v54
	v_mov_b32_e32 v53, v58
	v_add_co_ci_u32_e32 v55, vcc_lo, s1, v55, vcc_lo
	v_lshlrev_b64 v[56:57], 2, v[1:2]
	v_mul_lo_u32 v1, s18, v72
	v_lshlrev_b64 v[51:52], 2, v[52:53]
	s_clause 0xb
	global_load_dword v11, v[47:48], off
	global_load_dword v47, v[54:55], off
	;; [unrolled: 1-line block ×12, first 2 shown]
	v_add_co_u32 v5, vcc_lo, s0, v49
	v_add_co_ci_u32_e32 v6, vcc_lo, s1, v50, vcc_lo
	v_add_co_u32 v15, vcc_lo, s0, v51
	v_lshlrev_b64 v[3:4], 2, v[1:2]
	global_load_dword v33, v[33:34], off
	v_add_co_ci_u32_e32 v35, vcc_lo, s1, v52, vcc_lo
	v_add_co_u32 v5, vcc_lo, v5, v56
	v_add_co_ci_u32_e32 v6, vcc_lo, v6, v57, vcc_lo
	v_add_co_u32 v3, vcc_lo, v15, v3
	v_add_co_ci_u32_e32 v4, vcc_lo, v35, v4, vcc_lo
	s_clause 0x3
	global_load_dword v34, v[45:46], off
	global_load_dword v35, v[43:44], off
	;; [unrolled: 1-line block ×4, first 2 shown]
	v_mul_u32_u24_e32 v1, 0x2493, v0
	v_mad_u16 v4, v0, 7, 0x341
	s_clause 0x1
	s_load_dwordx4 s[4:7], s[20:21], 0x0
	s_load_dword s0, s[20:21], 0x10
	v_lshrrev_b32_e32 v15, 16, v1
	v_mul_lo_u16 v1, v0, 7
	v_and_b32_e32 v4, 0xffff, v4
	v_mul_lo_u16 v6, v15, 7
	v_and_b32_e32 v1, 0xffff, v1
	v_lshl_add_u32 v4, v4, 2, 0
	v_sub_nc_u16 v6, v0, v6
	v_lshl_add_u32 v36, v1, 2, 0
	v_mul_u32_u24_e32 v0, 0x227, v0
	v_and_b32_e32 v1, 0xffff, v6
	v_mad_u16 v6, v20, 7, v12
	v_mad_u16 v12, v21, 7, v13
	;; [unrolled: 1-line block ×9, first 2 shown]
	v_and_b32_e32 v6, 0xffff, v6
	v_and_b32_e32 v12, 0xffff, v12
	;; [unrolled: 1-line block ×3, first 2 shown]
	v_mad_u16 v21, v63, 7, v62
	v_mad_u16 v22, v65, 7, v64
	v_and_b32_e32 v14, 0xffff, v14
	v_and_b32_e32 v16, 0xffff, v16
	;; [unrolled: 1-line block ×6, first 2 shown]
	v_lshl_add_u32 v6, v6, 2, 0
	v_lshl_add_u32 v12, v12, 2, 0
	;; [unrolled: 1-line block ×3, first 2 shown]
	v_and_b32_e32 v21, 0xffff, v21
	v_lshl_add_u32 v14, v14, 2, 0
	v_lshl_add_u32 v16, v16, 2, 0
	;; [unrolled: 1-line block ×7, first 2 shown]
	v_lshlrev_b32_e32 v24, 2, v1
	v_add_co_u32 v1, s1, s19, v1
	v_lshrrev_b32_e32 v0, 16, v0
	s_waitcnt lgkmcnt(0)
	s_mul_i32 s12, s23, s6
	s_waitcnt vmcnt(16)
	ds_write_b32 v36, v11
	s_waitcnt vmcnt(15)
	ds_write_b32 v4, v47
	;; [unrolled: 2-line block ×11, first 2 shown]
	v_and_b32_e32 v4, 0xffff, v22
	v_mad_u16 v6, v67, 7, v66
	v_mad_u16 v9, v73, 7, v72
	;; [unrolled: 1-line block ×4, first 2 shown]
	v_lshl_add_u32 v4, v4, 2, 0
	v_and_b32_e32 v6, 0xffff, v6
	s_waitcnt vmcnt(5)
	ds_write_b32 v21, v32
	v_and_b32_e32 v7, 0xffff, v7
	v_and_b32_e32 v8, 0xffff, v8
	s_waitcnt vmcnt(4)
	ds_write_b32 v4, v33
	v_lshl_add_u32 v4, v6, 2, 0
	v_and_b32_e32 v6, 0xffff, v9
	v_mul_u32_u24_e32 v9, 28, v15
	v_lshl_add_u32 v7, v7, 2, 0
	v_lshl_add_u32 v8, v8, 2, 0
	s_waitcnt vmcnt(3)
	ds_write_b32 v4, v34
	s_waitcnt vmcnt(2)
	ds_write_b32 v7, v35
	;; [unrolled: 2-line block ×3, first 2 shown]
	v_lshl_add_u32 v6, v6, 2, 0
	v_add3_u32 v16, 0, v9, v24
	v_mul_lo_u16 v0, 0x121, v0
	s_waitcnt vmcnt(0)
	ds_write_b32 v6, v3
	s_waitcnt lgkmcnt(0)
	s_barrier
	buffer_gl0_inv
	ds_read2_b32 v[5:6], v16 offset1:119
	v_add_nc_u32_e32 v17, 0x200, v16
	v_add_nc_u32_e32 v18, 0x600, v16
	;; [unrolled: 1-line block ×5, first 2 shown]
	ds_read2_b32 v[7:8], v17 offset0:110 offset1:229
	ds_read2_b32 v[26:27], v18 offset0:92 offset1:211
	;; [unrolled: 1-line block ×3, first 2 shown]
	v_add_nc_u32_e32 v22, 0x1800, v16
	s_waitcnt lgkmcnt(3)
	v_add_f16_e32 v3, v6, v5
	v_add_f16_sdwa v4, v6, v5 dst_sel:DWORD dst_unused:UNUSED_PAD src0_sel:WORD_1 src1_sel:WORD_1
	s_waitcnt lgkmcnt(2)
	v_add_f16_e32 v3, v3, v7
	v_add_f16_sdwa v4, v4, v7 dst_sel:DWORD dst_unused:UNUSED_PAD src0_sel:DWORD src1_sel:WORD_1
	v_add_f16_e32 v11, v3, v8
	v_add_f16_sdwa v12, v4, v8 dst_sel:DWORD dst_unused:UNUSED_PAD src0_sel:DWORD src1_sel:WORD_1
	ds_read2_b32 v[3:4], v20 offset0:56 offset1:175
	s_waitcnt lgkmcnt(2)
	v_add_f16_e32 v11, v11, v26
	v_add_f16_sdwa v12, v12, v26 dst_sel:DWORD dst_unused:UNUSED_PAD src0_sel:DWORD src1_sel:WORD_1
	v_add_f16_e32 v23, v11, v27
	v_add_f16_sdwa v25, v12, v27 dst_sel:DWORD dst_unused:UNUSED_PAD src0_sel:DWORD src1_sel:WORD_1
	ds_read_b32 v32, v16 offset:7616
	ds_read2_b32 v[13:14], v21 offset0:38 offset1:157
	ds_read2_b32 v[11:12], v22 offset0:130 offset1:249
	s_waitcnt lgkmcnt(4)
	v_add_f16_e32 v28, v23, v9
	v_add_f16_sdwa v25, v25, v9 dst_sel:DWORD dst_unused:UNUSED_PAD src0_sel:DWORD src1_sel:WORD_1
	v_add_nc_u32_e32 v23, 0x1600, v16
	v_add_f16_e32 v28, v28, v10
	v_add_f16_sdwa v25, v25, v10 dst_sel:DWORD dst_unused:UNUSED_PAD src0_sel:DWORD src1_sel:WORD_1
	ds_read2_b32 v[39:40], v23 offset0:20 offset1:139
	s_waitcnt lgkmcnt(0)
	s_barrier
	v_add_f16_e32 v28, v28, v3
	v_add_f16_sdwa v25, v25, v3 dst_sel:DWORD dst_unused:UNUSED_PAD src0_sel:DWORD src1_sel:WORD_1
	buffer_gl0_inv
	v_add_f16_e32 v28, v28, v4
	v_add_f16_sdwa v25, v25, v4 dst_sel:DWORD dst_unused:UNUSED_PAD src0_sel:DWORD src1_sel:WORD_1
	v_add_f16_e32 v33, v12, v7
	v_add_f16_sdwa v34, v12, v7 dst_sel:DWORD dst_unused:UNUSED_PAD src0_sel:WORD_1 src1_sel:WORD_1
	v_sub_f16_e32 v35, v7, v12
	v_add_f16_e32 v28, v28, v13
	v_add_f16_sdwa v25, v25, v13 dst_sel:DWORD dst_unused:UNUSED_PAD src0_sel:DWORD src1_sel:WORD_1
	v_sub_f16_sdwa v36, v7, v12 dst_sel:DWORD dst_unused:UNUSED_PAD src0_sel:WORD_1 src1_sel:WORD_1
	v_sub_f16_sdwa v38, v6, v32 dst_sel:DWORD dst_unused:UNUSED_PAD src0_sel:WORD_1 src1_sel:WORD_1
	v_sub_f16_e32 v58, v6, v32
	v_add_f16_e32 v7, v28, v14
	v_add_f16_sdwa v25, v25, v14 dst_sel:DWORD dst_unused:UNUSED_PAD src0_sel:DWORD src1_sel:WORD_1
	v_add_f16_e32 v29, v40, v26
	v_add_f16_sdwa v28, v40, v26 dst_sel:DWORD dst_unused:UNUSED_PAD src0_sel:WORD_1 src1_sel:WORD_1
	v_sub_f16_e32 v30, v26, v40
	v_add_f16_e32 v41, v7, v39
	v_add_f16_sdwa v42, v25, v39 dst_sel:DWORD dst_unused:UNUSED_PAD src0_sel:DWORD src1_sel:WORD_1
	v_sub_f16_sdwa v31, v26, v40 dst_sel:DWORD dst_unused:UNUSED_PAD src0_sel:WORD_1 src1_sel:WORD_1
	v_add_f16_e32 v37, v32, v6
	v_mul_f16_e32 v47, 0xb5c8, v38
	v_add_f16_e32 v26, v41, v40
	v_add_f16_sdwa v40, v42, v40 dst_sel:DWORD dst_unused:UNUSED_PAD src0_sel:DWORD src1_sel:WORD_1
	v_mul_f16_e32 v46, 0xb964, v38
	v_mul_f16_e32 v45, 0xbb29, v38
	;; [unrolled: 1-line block ×3, first 2 shown]
	v_add_f16_e32 v48, v26, v11
	v_add_f16_sdwa v49, v40, v11 dst_sel:DWORD dst_unused:UNUSED_PAD src0_sel:DWORD src1_sel:WORD_1
	v_mul_f16_e32 v52, 0xbbb2, v38
	v_mul_f16_e32 v56, 0xba62, v38
	;; [unrolled: 1-line block ×4, first 2 shown]
	v_add_f16_sdwa v6, v32, v6 dst_sel:DWORD dst_unused:UNUSED_PAD src0_sel:WORD_1 src1_sel:WORD_1
	v_mul_f16_e32 v61, 0xb5c8, v58
	v_mul_f16_e32 v63, 0xb964, v58
	;; [unrolled: 1-line block ×8, first 2 shown]
	v_add_f16_e32 v25, v39, v27
	v_add_f16_sdwa v7, v39, v27 dst_sel:DWORD dst_unused:UNUSED_PAD src0_sel:WORD_1 src1_sel:WORD_1
	v_sub_f16_e32 v26, v27, v39
	v_sub_f16_sdwa v27, v27, v39 dst_sel:DWORD dst_unused:UNUSED_PAD src0_sel:WORD_1 src1_sel:WORD_1
	v_sub_f16_sdwa v43, v9, v14 dst_sel:DWORD dst_unused:UNUSED_PAD src0_sel:WORD_1 src1_sel:WORD_1
	v_add_f16_e32 v41, v14, v9
	v_sub_f16_e32 v44, v9, v14
	v_add_f16_sdwa v42, v14, v9 dst_sel:DWORD dst_unused:UNUSED_PAD src0_sel:WORD_1 src1_sel:WORD_1
	v_sub_f16_sdwa v40, v10, v13 dst_sel:DWORD dst_unused:UNUSED_PAD src0_sel:WORD_1 src1_sel:WORD_1
	v_sub_f16_e32 v39, v10, v13
	v_add_f16_e32 v14, v13, v10
	v_add_f16_sdwa v9, v13, v10 dst_sel:DWORD dst_unused:UNUSED_PAD src0_sel:WORD_1 src1_sel:WORD_1
	v_add_f16_e32 v10, v11, v8
	v_add_f16_sdwa v13, v11, v8 dst_sel:DWORD dst_unused:UNUSED_PAD src0_sel:WORD_1 src1_sel:WORD_1
	v_sub_f16_e32 v50, v8, v11
	v_sub_f16_sdwa v8, v8, v11 dst_sel:DWORD dst_unused:UNUSED_PAD src0_sel:WORD_1 src1_sel:WORD_1
	v_fma_f16 v11, v37, 0x3b76, -v47
	v_fmac_f16_e32 v47, 0x3b76, v37
	v_add_f16_e32 v48, v48, v12
	v_add_f16_sdwa v12, v49, v12 dst_sel:DWORD dst_unused:UNUSED_PAD src0_sel:DWORD src1_sel:WORD_1
	v_fma_f16 v49, v37, 0x39e9, -v46
	v_fmac_f16_e32 v46, 0x39e9, v37
	v_fma_f16 v53, v37, 0x3722, -v45
	v_fmac_f16_e32 v45, 0x3722, v37
	;; [unrolled: 2-line block ×7, first 2 shown]
	v_fmamk_f16 v37, v6, 0x3b76, v61
	v_fma_f16 v61, v6, 0x3b76, -v61
	v_fmamk_f16 v65, v6, 0x39e9, v63
	v_fma_f16 v63, v6, 0x39e9, -v63
	;; [unrolled: 2-line block ×8, first 2 shown]
	v_add_f16_e32 v11, v11, v5
	v_add_f16_sdwa v37, v37, v5 dst_sel:DWORD dst_unused:UNUSED_PAD src0_sel:DWORD src1_sel:WORD_1
	v_add_f16_e32 v47, v47, v5
	v_add_f16_sdwa v58, v61, v5 dst_sel:DWORD dst_unused:UNUSED_PAD src0_sel:DWORD src1_sel:WORD_1
	;; [unrolled: 2-line block ×16, first 2 shown]
	v_add_f16_e32 v5, v48, v32
	v_add_f16_sdwa v12, v12, v32 dst_sel:WORD_1 dst_unused:UNUSED_PAD src0_sel:DWORD src1_sel:WORD_1
	v_mul_f16_e32 v32, 0xb964, v36
	v_mul_f16_e32 v48, 0xb964, v35
	v_or_b32_sdwa v5, v12, v5 dst_sel:DWORD dst_unused:UNUSED_PAD src0_sel:DWORD src1_sel:WORD_0
	v_fma_f16 v12, v33, 0x39e9, -v32
	v_fmac_f16_e32 v32, 0x39e9, v33
	v_add_f16_e32 v11, v12, v11
	v_fmamk_f16 v12, v34, 0x39e9, v48
	v_add_f16_e32 v32, v32, v47
	v_add_f16_e32 v12, v12, v37
	v_fma_f16 v37, v34, 0x39e9, -v48
	v_mul_f16_e32 v48, 0xbbf7, v36
	v_add_f16_e32 v37, v37, v58
	v_fma_f16 v47, v33, 0x2de8, -v48
	v_mul_f16_e32 v58, 0xbbf7, v35
	v_fmac_f16_e32 v48, 0x2de8, v33
	v_add_f16_e32 v47, v47, v49
	v_fmamk_f16 v49, v34, 0x2de8, v58
	v_fma_f16 v58, v34, 0x2de8, -v58
	v_add_f16_e32 v46, v48, v46
	v_add_f16_e32 v49, v49, v61
	v_mul_f16_e32 v61, 0xba62, v36
	v_add_f16_e32 v48, v58, v63
	v_mul_f16_e32 v63, 0xba62, v35
	v_fma_f16 v58, v33, 0xb8d2, -v61
	v_fmac_f16_e32 v61, 0xb8d2, v33
	v_add_f16_e32 v53, v58, v53
	v_fmamk_f16 v58, v34, 0xb8d2, v63
	v_fma_f16 v63, v34, 0xb8d2, -v63
	v_add_f16_e32 v45, v61, v45
	v_add_f16_e32 v58, v58, v65
	v_mul_f16_e32 v65, 0xb1e1, v36
	v_add_f16_e32 v61, v63, v64
	v_mul_f16_e32 v64, 0xb1e1, v35
	v_fma_f16 v63, v33, 0xbbdd, -v65
	;; [unrolled: 10-line block ×4, first 2 shown]
	v_fmac_f16_e32 v69, 0xb461, v33
	v_add_f16_e32 v59, v67, v59
	v_fmamk_f16 v67, v34, 0xb461, v68
	v_fma_f16 v68, v34, 0xb461, -v68
	v_add_f16_e32 v56, v69, v56
	v_add_f16_e32 v67, v67, v71
	v_mul_f16_e32 v71, 0x3b29, v36
	v_mul_f16_e32 v36, 0x35c8, v36
	v_add_f16_e32 v68, v68, v70
	v_mul_f16_e32 v70, 0x3b29, v35
	v_mul_f16_e32 v35, 0x35c8, v35
	v_fma_f16 v69, v33, 0x3722, -v71
	v_fmac_f16_e32 v71, 0x3722, v33
	v_add_f16_e32 v60, v69, v60
	v_add_f16_e32 v57, v71, v57
	v_fma_f16 v71, v33, 0x3b76, -v36
	v_fmamk_f16 v69, v34, 0x3722, v70
	v_fma_f16 v70, v34, 0x3722, -v70
	v_fmac_f16_e32 v36, 0x3b76, v33
	v_fmamk_f16 v33, v34, 0x3b76, v35
	v_fma_f16 v34, v34, 0x3b76, -v35
	v_mul_f16_e32 v35, 0xbb29, v8
	v_add_f16_e32 v62, v71, v62
	v_mul_f16_e32 v71, 0xbb29, v50
	v_add_f16_e32 v70, v70, v72
	v_add_f16_e32 v36, v36, v38
	v_fma_f16 v72, v10, 0x3722, -v35
	v_add_f16_e32 v6, v34, v6
	v_fmamk_f16 v34, v13, 0x3722, v71
	v_mul_f16_e32 v38, 0xba62, v8
	v_fmac_f16_e32 v35, 0x3722, v10
	v_fma_f16 v71, v13, 0x3722, -v71
	v_add_f16_e32 v11, v72, v11
	v_add_f16_e32 v12, v34, v12
	v_fma_f16 v34, v10, 0xb8d2, -v38
	v_mul_f16_e32 v72, 0xba62, v50
	v_add_f16_e32 v32, v35, v32
	v_add_f16_e32 v35, v71, v37
	v_mul_f16_e32 v37, 0x31e1, v8
	v_add_f16_e32 v69, v69, v73
	v_add_f16_e32 v34, v34, v47
	v_fmamk_f16 v47, v13, 0xb8d2, v72
	v_fmac_f16_e32 v38, 0xb8d2, v10
	v_fma_f16 v71, v13, 0xb8d2, -v72
	v_fma_f16 v72, v10, 0xbbdd, -v37
	v_mul_f16_e32 v73, 0x31e1, v50
	v_add_f16_e32 v47, v47, v49
	v_add_f16_e32 v38, v38, v46
	;; [unrolled: 1-line block ×4, first 2 shown]
	v_fmamk_f16 v49, v13, 0xbbdd, v73
	v_mul_f16_e32 v53, 0x3bb2, v8
	v_fmac_f16_e32 v37, 0xbbdd, v10
	v_fma_f16 v71, v13, 0xbbdd, -v73
	v_mul_f16_e32 v72, 0x3bb2, v50
	v_add_f16_e32 v49, v49, v58
	v_fma_f16 v58, v10, 0xb461, -v53
	v_add_f16_e32 v37, v37, v45
	v_add_f16_e32 v45, v71, v61
	v_fmamk_f16 v61, v13, 0xb461, v72
	v_mul_f16_e32 v71, 0x3964, v8
	v_add_f16_e32 v54, v58, v54
	v_fmac_f16_e32 v53, 0xb461, v10
	v_fma_f16 v58, v13, 0xb461, -v72
	v_add_f16_e32 v61, v61, v63
	v_fma_f16 v63, v10, 0x39e9, -v71
	v_mul_f16_e32 v72, 0x3964, v50
	v_add_f16_e32 v51, v53, v51
	v_add_f16_e32 v53, v58, v64
	v_mul_f16_e32 v58, 0xb5c8, v8
	v_add_f16_e32 v55, v63, v55
	v_fmamk_f16 v63, v13, 0x39e9, v72
	v_fmac_f16_e32 v71, 0x39e9, v10
	v_fma_f16 v64, v13, 0x39e9, -v72
	v_mul_f16_e32 v73, 0xb5c8, v50
	v_fma_f16 v72, v10, 0x3b76, -v58
	v_add_f16_e32 v63, v63, v65
	v_add_f16_e32 v52, v71, v52
	;; [unrolled: 1-line block ×3, first 2 shown]
	v_fmamk_f16 v65, v13, 0x3b76, v73
	v_fmac_f16_e32 v58, 0x3b76, v10
	v_mul_f16_e32 v66, 0xbbf7, v8
	v_mul_f16_e32 v71, 0xbbf7, v50
	;; [unrolled: 1-line block ×3, first 2 shown]
	v_add_f16_e32 v65, v65, v67
	v_add_f16_e32 v56, v58, v56
	v_fma_f16 v58, v10, 0x2de8, -v66
	v_fmamk_f16 v67, v13, 0x2de8, v71
	v_fmac_f16_e32 v66, 0x2de8, v10
	v_mul_f16_e32 v50, 0xb836, v50
	v_add_f16_e32 v33, v33, v74
	v_add_f16_e32 v59, v72, v59
	v_fma_f16 v72, v13, 0x3b76, -v73
	v_add_f16_e32 v58, v58, v60
	v_add_f16_e32 v60, v67, v69
	;; [unrolled: 1-line block ×3, first 2 shown]
	v_fma_f16 v66, v10, 0xbacd, -v8
	v_fma_f16 v67, v13, 0x2de8, -v71
	v_fmac_f16_e32 v8, 0xbacd, v10
	v_fmamk_f16 v10, v13, 0xbacd, v50
	v_fma_f16 v13, v13, 0xbacd, -v50
	v_mul_f16_e32 v50, 0xbbf7, v31
	v_add_f16_e32 v62, v66, v62
	v_mul_f16_e32 v66, 0xbbf7, v30
	v_add_f16_e32 v10, v10, v33
	v_add_f16_e32 v8, v8, v36
	v_fma_f16 v33, v29, 0x2de8, -v50
	v_add_f16_e32 v6, v13, v6
	v_fmamk_f16 v13, v28, 0x2de8, v66
	v_mul_f16_e32 v36, 0xb1e1, v31
	v_fmac_f16_e32 v50, 0x2de8, v29
	v_add_f16_e32 v11, v33, v11
	v_fma_f16 v33, v28, 0x2de8, -v66
	v_add_f16_e32 v12, v13, v12
	v_fma_f16 v13, v29, 0xbbdd, -v36
	v_mul_f16_e32 v66, 0xb1e1, v30
	v_add_f16_e32 v32, v50, v32
	v_add_f16_e32 v33, v33, v35
	v_mul_f16_e32 v35, 0x3bb2, v31
	v_add_f16_e32 v13, v13, v34
	v_fmamk_f16 v34, v28, 0xbbdd, v66
	v_fmac_f16_e32 v36, 0xbbdd, v29
	v_fma_f16 v50, v28, 0xbbdd, -v66
	v_fma_f16 v66, v29, 0xb461, -v35
	v_mul_f16_e32 v69, 0x3bb2, v30
	v_add_f16_e32 v34, v34, v47
	v_add_f16_e32 v36, v36, v38
	;; [unrolled: 1-line block ×4, first 2 shown]
	v_fmamk_f16 v47, v28, 0xb461, v69
	v_mul_f16_e32 v48, 0x35c8, v31
	v_fmac_f16_e32 v35, 0xb461, v29
	v_fma_f16 v50, v28, 0xb461, -v69
	v_mul_f16_e32 v66, 0x35c8, v30
	v_add_f16_e32 v47, v47, v49
	v_fma_f16 v49, v29, 0x3b76, -v48
	v_add_f16_e32 v35, v35, v37
	v_add_f16_e32 v37, v50, v45
	v_fmamk_f16 v45, v28, 0x3b76, v66
	v_mul_f16_e32 v50, 0xbb29, v31
	v_add_f16_e32 v49, v49, v54
	v_fmac_f16_e32 v48, 0x3b76, v29
	v_fma_f16 v54, v28, 0x3b76, -v66
	v_add_f16_e32 v45, v45, v61
	v_fma_f16 v61, v29, 0x3722, -v50
	v_mul_f16_e32 v66, 0xbb29, v30
	v_add_f16_e32 v48, v48, v51
	v_add_f16_e32 v51, v54, v53
	v_mul_f16_e32 v53, 0xb836, v31
	v_add_f16_e32 v54, v61, v55
	v_fmamk_f16 v55, v28, 0x3722, v66
	v_fmac_f16_e32 v50, 0x3722, v29
	v_fma_f16 v61, v28, 0x3722, -v66
	v_mul_f16_e32 v69, 0xb836, v30
	v_fma_f16 v66, v29, 0xbacd, -v53
	v_add_f16_e32 v55, v55, v63
	v_add_f16_e32 v50, v50, v52
	;; [unrolled: 1-line block ×3, first 2 shown]
	v_fmamk_f16 v61, v28, 0xbacd, v69
	v_fmac_f16_e32 v53, 0xbacd, v29
	v_mul_f16_e32 v63, 0x3a62, v31
	v_mul_f16_e32 v64, 0x3a62, v30
	v_mul_f16_e32 v31, 0x3964, v31
	v_add_f16_e32 v61, v61, v65
	v_add_f16_e32 v53, v53, v56
	v_fma_f16 v56, v29, 0xb8d2, -v63
	v_fmamk_f16 v65, v28, 0xb8d2, v64
	v_fmac_f16_e32 v63, 0xb8d2, v29
	v_mul_f16_e32 v30, 0x3964, v30
	v_add_f16_e32 v59, v66, v59
	v_fma_f16 v66, v28, 0xbacd, -v69
	v_add_f16_e32 v56, v56, v58
	v_add_f16_e32 v58, v65, v60
	;; [unrolled: 1-line block ×3, first 2 shown]
	v_fma_f16 v60, v29, 0x39e9, -v31
	v_fma_f16 v63, v28, 0xb8d2, -v64
	v_fmac_f16_e32 v31, 0x39e9, v29
	v_fmamk_f16 v29, v28, 0x39e9, v30
	v_fma_f16 v28, v28, 0x39e9, -v30
	v_mul_f16_e32 v30, 0xbbb2, v27
	v_add_f16_e32 v60, v60, v62
	v_mul_f16_e32 v62, 0xbbb2, v26
	v_add_f16_e32 v10, v29, v10
	v_add_f16_e32 v8, v31, v8
	v_fma_f16 v29, v25, 0xb461, -v30
	v_add_f16_e32 v6, v28, v6
	v_fmamk_f16 v28, v7, 0xb461, v62
	v_mul_f16_e32 v31, 0x3836, v27
	v_fmac_f16_e32 v30, 0xb461, v25
	v_add_f16_e32 v11, v29, v11
	v_fma_f16 v29, v7, 0xb461, -v62
	v_mul_f16_e32 v62, 0x3836, v26
	v_add_f16_e32 v12, v28, v12
	v_fma_f16 v28, v25, 0xbacd, -v31
	v_add_f16_e32 v30, v30, v32
	v_add_f16_e32 v29, v29, v33
	v_mul_f16_e32 v32, 0x3964, v27
	v_fmac_f16_e32 v31, 0xbacd, v25
	v_fma_f16 v33, v7, 0xbacd, -v62
	v_mul_f16_e32 v64, 0x3964, v26
	v_add_f16_e32 v13, v28, v13
	v_fmamk_f16 v28, v7, 0xbacd, v62
	v_fma_f16 v62, v25, 0x39e9, -v32
	v_add_f16_e32 v31, v31, v36
	v_add_f16_e32 v33, v33, v38
	v_fmamk_f16 v36, v7, 0x39e9, v64
	v_mul_f16_e32 v38, 0xbb29, v27
	v_add_f16_e32 v28, v28, v34
	v_add_f16_e32 v34, v62, v46
	v_fmac_f16_e32 v32, 0x39e9, v25
	v_fma_f16 v46, v7, 0x39e9, -v64
	v_mul_f16_e32 v62, 0xbb29, v26
	v_add_f16_e32 v36, v36, v47
	v_fma_f16 v47, v25, 0x3722, -v38
	v_add_f16_e32 v32, v32, v35
	v_add_f16_e32 v35, v46, v37
	v_fmamk_f16 v37, v7, 0x3722, v62
	v_mul_f16_e32 v46, 0xb1e1, v27
	v_add_f16_e32 v47, v47, v49
	v_fmac_f16_e32 v38, 0x3722, v25
	v_fma_f16 v49, v7, 0x3722, -v62
	v_add_f16_e32 v37, v37, v45
	v_fma_f16 v45, v25, 0xbbdd, -v46
	v_mul_f16_e32 v62, 0xb1e1, v26
	v_add_f16_e32 v38, v38, v48
	v_add_f16_e32 v48, v49, v51
	v_mul_f16_e32 v49, 0x3bf7, v27
	v_add_f16_e32 v45, v45, v54
	v_fmamk_f16 v51, v7, 0xbbdd, v62
	v_fmac_f16_e32 v46, 0xbbdd, v25
	v_fma_f16 v54, v7, 0xbbdd, -v62
	v_fma_f16 v62, v25, 0x2de8, -v49
	v_mul_f16_e32 v64, 0x3bf7, v26
	v_add_f16_e32 v51, v51, v55
	v_add_f16_e32 v46, v46, v50
	;; [unrolled: 1-line block ×4, first 2 shown]
	v_fmamk_f16 v54, v7, 0x2de8, v64
	v_fmac_f16_e32 v49, 0x2de8, v25
	v_mul_f16_e32 v55, 0xb5c8, v27
	v_mul_f16_e32 v59, 0xb5c8, v26
	;; [unrolled: 1-line block ×3, first 2 shown]
	v_add_f16_e32 v54, v54, v61
	v_add_f16_e32 v49, v49, v53
	v_fma_f16 v53, v25, 0x3b76, -v55
	v_fmamk_f16 v61, v7, 0x3b76, v59
	v_fmac_f16_e32 v55, 0x3b76, v25
	v_mul_f16_e32 v26, 0xba62, v26
	v_fma_f16 v62, v7, 0x2de8, -v64
	v_add_f16_e32 v53, v53, v56
	v_add_f16_e32 v56, v61, v58
	v_add_f16_e32 v55, v55, v57
	v_fma_f16 v57, v25, 0xb8d2, -v27
	v_fma_f16 v58, v7, 0x3b76, -v59
	v_fmac_f16_e32 v27, 0xb8d2, v25
	v_fmamk_f16 v25, v7, 0xb8d2, v26
	v_fma_f16 v7, v7, 0xb8d2, -v26
	v_mul_f16_e32 v26, 0xba62, v43
	v_mul_f16_e32 v59, 0xba62, v44
	v_add_f16_e32 v8, v27, v8
	v_add_f16_e32 v10, v25, v10
	;; [unrolled: 1-line block ×3, first 2 shown]
	v_fma_f16 v25, v41, 0xb8d2, -v26
	v_fmamk_f16 v7, v42, 0xb8d2, v59
	v_mul_f16_e32 v27, 0x3bb2, v43
	v_fmac_f16_e32 v26, 0xb8d2, v41
	v_add_f16_e32 v57, v57, v60
	v_add_f16_e32 v11, v25, v11
	v_fma_f16 v25, v42, 0xb8d2, -v59
	v_add_f16_e32 v7, v7, v12
	v_fma_f16 v12, v41, 0xb461, -v27
	v_mul_f16_e32 v59, 0x3bb2, v44
	v_add_f16_e32 v26, v26, v30
	v_add_f16_e32 v25, v25, v29
	v_mul_f16_e32 v29, 0xb5c8, v43
	v_add_f16_e32 v12, v12, v13
	v_fmamk_f16 v13, v42, 0xb461, v59
	v_fmac_f16_e32 v27, 0xb461, v41
	v_fma_f16 v30, v42, 0xb461, -v59
	v_mul_f16_e32 v60, 0xb5c8, v44
	v_fma_f16 v59, v41, 0x3b76, -v29
	v_add_f16_e32 v13, v13, v28
	v_add_f16_e32 v27, v27, v31
	;; [unrolled: 1-line block ×3, first 2 shown]
	v_fmamk_f16 v31, v42, 0x3b76, v60
	v_mul_f16_e32 v33, 0xb836, v43
	v_add_f16_e32 v30, v59, v34
	v_fmac_f16_e32 v29, 0x3b76, v41
	v_fma_f16 v34, v42, 0x3b76, -v60
	v_mul_f16_e32 v59, 0xb836, v44
	v_add_f16_e32 v31, v31, v36
	v_fma_f16 v36, v41, 0xbacd, -v33
	v_add_f16_e32 v29, v29, v32
	v_add_f16_e32 v32, v34, v35
	v_fmamk_f16 v34, v42, 0xbacd, v59
	v_mul_f16_e32 v35, 0x3bf7, v43
	v_add_f16_e32 v36, v36, v47
	v_fmac_f16_e32 v33, 0xbacd, v41
	v_fma_f16 v47, v42, 0xbacd, -v59
	v_add_f16_e32 v34, v34, v37
	v_fma_f16 v37, v41, 0x2de8, -v35
	v_mul_f16_e32 v59, 0x3bf7, v44
	v_add_f16_e32 v33, v33, v38
	v_add_f16_e32 v38, v47, v48
	v_mul_f16_e32 v47, 0xb964, v43
	v_add_f16_e32 v37, v37, v45
	v_fmamk_f16 v45, v42, 0x2de8, v59
	v_fmac_f16_e32 v35, 0x2de8, v41
	v_fma_f16 v48, v42, 0x2de8, -v59
	v_fma_f16 v59, v41, 0x39e9, -v47
	v_mul_f16_e32 v60, 0xb964, v44
	v_add_f16_e32 v45, v45, v51
	v_add_f16_e32 v35, v35, v46
	;; [unrolled: 1-line block ×4, first 2 shown]
	v_fmamk_f16 v50, v42, 0x39e9, v60
	v_fmac_f16_e32 v47, 0x39e9, v41
	v_mul_f16_e32 v51, 0xb1e1, v43
	v_mul_f16_e32 v52, 0xb1e1, v44
	;; [unrolled: 1-line block ×3, first 2 shown]
	v_add_f16_e32 v50, v50, v54
	v_add_f16_e32 v47, v47, v49
	v_fma_f16 v49, v41, 0xbbdd, -v51
	v_fmamk_f16 v54, v42, 0xbbdd, v52
	v_mul_f16_e32 v44, 0x3b29, v44
	v_fma_f16 v59, v42, 0x39e9, -v60
	v_fmac_f16_e32 v51, 0xbbdd, v41
	v_add_f16_e32 v49, v49, v53
	v_add_f16_e32 v53, v54, v56
	v_fma_f16 v54, v41, 0x3722, -v43
	v_fma_f16 v52, v42, 0xbbdd, -v52
	v_fmac_f16_e32 v43, 0x3722, v41
	v_fmamk_f16 v41, v42, 0x3722, v44
	v_fma_f16 v42, v42, 0x3722, -v44
	v_mul_f16_e32 v44, 0xb836, v40
	v_add_f16_e32 v51, v51, v55
	v_add_f16_e32 v8, v43, v8
	;; [unrolled: 1-line block ×3, first 2 shown]
	v_mul_f16_e32 v41, 0xb836, v39
	v_fma_f16 v55, v14, 0xbacd, -v44
	v_add_f16_e32 v6, v42, v6
	v_mul_f16_e32 v42, 0x3b29, v40
	v_fmac_f16_e32 v44, 0xbacd, v14
	v_fmamk_f16 v43, v9, 0xbacd, v41
	v_add_f16_e32 v11, v55, v11
	v_fma_f16 v41, v9, 0xbacd, -v41
	v_fma_f16 v55, v14, 0x3722, -v42
	v_fmac_f16_e32 v42, 0x3722, v14
	v_add_f16_e32 v7, v43, v7
	v_mul_f16_e32 v43, 0x3b29, v39
	v_add_f16_e32 v26, v44, v26
	v_add_f16_e32 v12, v55, v12
	v_mul_f16_e32 v55, 0xbbf7, v39
	v_add_f16_e32 v25, v41, v25
	v_mul_f16_e32 v41, 0xbbf7, v40
	v_fmamk_f16 v44, v9, 0x3722, v43
	v_fma_f16 v43, v9, 0x3722, -v43
	v_add_f16_e32 v27, v42, v27
	v_fmamk_f16 v42, v9, 0x2de8, v55
	v_fma_f16 v56, v14, 0x2de8, -v41
	v_add_f16_e32 v13, v44, v13
	v_add_f16_e32 v28, v43, v28
	v_mul_f16_e32 v43, 0x3a62, v40
	v_fmac_f16_e32 v41, 0x2de8, v14
	v_fma_f16 v44, v9, 0x2de8, -v55
	v_add_f16_e32 v31, v42, v31
	v_mul_f16_e32 v42, 0x3a62, v39
	v_fma_f16 v55, v14, 0xb8d2, -v43
	v_add_f16_e32 v29, v41, v29
	v_add_f16_e32 v32, v44, v32
	v_mul_f16_e32 v41, 0xb5c8, v40
	v_fmamk_f16 v44, v9, 0xb8d2, v42
	v_fma_f16 v42, v9, 0xb8d2, -v42
	v_add_f16_e32 v36, v55, v36
	v_fmac_f16_e32 v43, 0xb8d2, v14
	v_fma_f16 v55, v14, 0x3b76, -v41
	v_add_f16_e32 v34, v44, v34
	v_mul_f16_e32 v44, 0xb5c8, v39
	v_add_f16_e32 v38, v42, v38
	v_mul_f16_e32 v42, 0xb1e1, v40
	v_add_f16_e32 v67, v67, v70
	v_add_f16_e32 v30, v56, v30
	;; [unrolled: 1-line block ×4, first 2 shown]
	v_fmamk_f16 v43, v9, 0x3b76, v44
	v_fmac_f16_e32 v41, 0x3b76, v14
	v_fma_f16 v44, v9, 0x3b76, -v44
	v_mul_f16_e32 v55, 0xb1e1, v39
	v_fma_f16 v56, v14, 0xbbdd, -v42
	v_add_f16_e32 v63, v63, v67
	v_add_f16_e32 v43, v43, v45
	;; [unrolled: 1-line block ×4, first 2 shown]
	v_fmamk_f16 v44, v9, 0xbbdd, v55
	v_add_f16_e32 v45, v56, v48
	v_fmac_f16_e32 v42, 0xbbdd, v14
	v_mul_f16_e32 v48, 0x3964, v40
	v_add_f16_e32 v58, v58, v63
	v_add_f16_e32 v44, v44, v50
	v_mul_f16_e32 v50, 0x3964, v39
	v_add_f16_e32 v42, v42, v47
	v_fma_f16 v47, v14, 0x39e9, -v48
	v_mul_f16_e32 v40, 0xbbb2, v40
	v_fmac_f16_e32 v48, 0x39e9, v14
	v_add_f16_e32 v52, v52, v58
	v_add_f16_e32 v54, v54, v57
	v_fma_f16 v46, v9, 0xbbdd, -v55
	v_fmamk_f16 v55, v9, 0x39e9, v50
	v_fma_f16 v50, v9, 0x39e9, -v50
	v_add_f16_e32 v47, v47, v49
	v_fma_f16 v49, v14, 0xb461, -v40
	v_add_f16_e32 v48, v48, v51
	v_sub_f16_sdwa v51, v3, v4 dst_sel:DWORD dst_unused:UNUSED_PAD src0_sel:WORD_1 src1_sel:WORD_1
	v_add_f16_e32 v50, v50, v52
	v_mul_f16_e32 v39, 0xbbb2, v39
	v_add_f16_e32 v49, v49, v54
	v_fmac_f16_e32 v40, 0xb461, v14
	v_add_f16_e32 v14, v4, v3
	v_mul_f16_e32 v52, 0xb1e1, v51
	v_sub_f16_e32 v54, v3, v4
	v_add_f16_e32 v53, v55, v53
	v_fmamk_f16 v55, v9, 0xb461, v39
	v_fma_f16 v9, v9, 0xb461, -v39
	v_add_f16_sdwa v3, v4, v3 dst_sel:DWORD dst_unused:UNUSED_PAD src0_sel:WORD_1 src1_sel:WORD_1
	v_fma_f16 v4, v14, 0xbbdd, -v52
	v_mul_f16_e32 v39, 0xb1e1, v54
	v_add_f16_e32 v8, v40, v8
	v_add_f16_e32 v6, v9, v6
	v_fmac_f16_e32 v52, 0xbbdd, v14
	v_add_f16_e32 v4, v4, v11
	v_fmamk_f16 v9, v3, 0xbbdd, v39
	v_mul_f16_e32 v11, 0x35c8, v51
	v_fma_f16 v39, v3, 0xbbdd, -v39
	v_mul_f16_e32 v40, 0x35c8, v54
	v_add_f16_e32 v26, v52, v26
	v_add_f16_e32 v7, v9, v7
	v_fma_f16 v9, v14, 0x3b76, -v11
	v_add_f16_e32 v25, v39, v25
	v_fmamk_f16 v39, v3, 0x3b76, v40
	v_mul_f16_e32 v52, 0xb836, v51
	v_fmac_f16_e32 v11, 0x3b76, v14
	v_add_f16_e32 v9, v9, v12
	v_fma_f16 v12, v3, 0x3b76, -v40
	v_add_f16_e32 v13, v39, v13
	v_fma_f16 v39, v14, 0xbacd, -v52
	v_mul_f16_e32 v40, 0xb836, v54
	v_add_f16_e32 v11, v11, v27
	v_mul_f16_e32 v27, 0x3964, v51
	v_add_f16_e32 v68, v72, v68
	v_add_f16_e32 v10, v55, v10
	;; [unrolled: 1-line block ×4, first 2 shown]
	v_fmamk_f16 v30, v3, 0xbacd, v40
	v_fmac_f16_e32 v52, 0xbacd, v14
	v_fma_f16 v39, v3, 0xbacd, -v40
	v_fma_f16 v40, v14, 0x39e9, -v27
	v_mul_f16_e32 v55, 0x3964, v54
	v_add_f16_e32 v66, v66, v68
	v_add_f16_e32 v30, v30, v31
	;; [unrolled: 1-line block ×5, first 2 shown]
	v_fmamk_f16 v36, v3, 0x39e9, v55
	v_mul_f16_e32 v39, 0xba62, v51
	v_fmac_f16_e32 v27, 0x39e9, v14
	v_fma_f16 v40, v3, 0x39e9, -v55
	v_mul_f16_e32 v52, 0xba62, v54
	v_add_f16_e32 v62, v62, v66
	v_add_f16_e32 v34, v36, v34
	v_fma_f16 v36, v14, 0xb8d2, -v39
	v_add_f16_e32 v27, v27, v33
	v_add_f16_e32 v33, v40, v38
	v_fmamk_f16 v38, v3, 0xb8d2, v52
	v_mul_f16_e32 v40, 0x3b29, v51
	v_add_f16_e32 v59, v59, v62
	v_add_f16_e32 v36, v36, v37
	v_fmac_f16_e32 v39, 0xb8d2, v14
	v_fma_f16 v37, v3, 0xb8d2, -v52
	v_add_f16_e32 v38, v38, v43
	v_fma_f16 v43, v14, 0x3722, -v40
	v_mul_f16_e32 v52, 0x3b29, v54
	v_add_f16_e32 v46, v46, v59
	v_add_f16_e32 v35, v39, v35
	;; [unrolled: 1-line block ×3, first 2 shown]
	v_mul_f16_e32 v39, 0xbbb2, v51
	v_add_f16_e32 v41, v43, v45
	v_fmac_f16_e32 v40, 0x3722, v14
	v_fma_f16 v45, v3, 0x3722, -v52
	v_fmamk_f16 v43, v3, 0x3722, v52
	v_fma_f16 v52, v14, 0xb461, -v39
	v_fmac_f16_e32 v39, 0xb461, v14
	v_add_f16_e32 v40, v40, v42
	v_add_f16_e32 v42, v45, v46
	v_mul_f16_e32 v46, 0x3bf7, v51
	v_mul_f16_e32 v55, 0xbbb2, v54
	v_add_f16_e32 v39, v39, v48
	v_add_f16_e32 v43, v43, v44
	v_add_f16_e32 v44, v52, v47
	v_fma_f16 v48, v14, 0x2de8, -v46
	v_fmac_f16_e32 v46, 0x2de8, v14
	v_mul_u32_u24_e32 v14, 0x1dc, v15
	v_fma_f16 v47, v3, 0xb461, -v55
	v_mul_f16_e32 v51, 0x3bf7, v54
	v_fmamk_f16 v45, v3, 0xb461, v55
	v_pack_b32_f16 v4, v4, v7
	v_add3_u32 v14, 0, v14, v24
	v_add_f16_e32 v47, v47, v50
	v_fmamk_f16 v50, v3, 0x2de8, v51
	v_fma_f16 v3, v3, 0x2de8, -v51
	v_add_f16_e32 v45, v45, v53
	ds_write2_b32 v14, v5, v4 offset1:7
	v_pack_b32_f16 v4, v9, v13
	v_pack_b32_f16 v5, v28, v30
	v_mul_lo_u16 v24, v15, 31
	v_add_f16_e32 v48, v48, v49
	v_add_f16_e32 v10, v50, v10
	;; [unrolled: 1-line block ×4, first 2 shown]
	v_pack_b32_f16 v6, v32, v34
	v_pack_b32_f16 v7, v36, v38
	;; [unrolled: 1-line block ×4, first 2 shown]
	ds_write2_b32 v14, v4, v5 offset0:14 offset1:21
	ds_write2_b32 v14, v6, v7 offset0:28 offset1:35
	v_lshrrev_b16 v4, 9, v24
	v_pack_b32_f16 v10, v48, v10
	v_pack_b32_f16 v3, v8, v3
	ds_write2_b32 v14, v9, v13 offset0:42 offset1:49
	ds_write2_b32 v14, v10, v3 offset0:56 offset1:63
	v_mul_lo_u16 v3, v4, 17
	v_pack_b32_f16 v5, v39, v47
	v_pack_b32_f16 v6, v40, v42
	v_mov_b32_e32 v10, 6
	v_pack_b32_f16 v4, v35, v37
	v_sub_nc_u16 v3, v15, v3
	v_pack_b32_f16 v7, v27, v33
	v_pack_b32_f16 v8, v29, v31
	v_pack_b32_f16 v9, v11, v12
	v_pack_b32_f16 v11, v26, v25
	ds_write2_b32 v14, v5, v6 offset0:70 offset1:77
	ds_write2_b32 v14, v4, v7 offset0:84 offset1:91
	;; [unrolled: 1-line block ×3, first 2 shown]
	v_lshlrev_b32_sdwa v8, v10, v3 dst_sel:DWORD dst_unused:UNUSED_PAD src0_sel:DWORD src1_sel:BYTE_0
	v_add_nc_u32_sdwa v0, v3, v0 dst_sel:DWORD dst_unused:UNUSED_PAD src0_sel:BYTE_0 src1_sel:WORD_0
	ds_write_b32 v14, v11 offset:448
	s_waitcnt lgkmcnt(0)
	s_barrier
	buffer_gl0_inv
	s_clause 0x3
	global_load_dwordx4 v[4:7], v8, s[8:9]
	global_load_dwordx4 v[9:12], v8, s[8:9] offset:16
	global_load_dwordx4 v[27:30], v8, s[8:9] offset:32
	;; [unrolled: 1-line block ×3, first 2 shown]
	ds_read2_b32 v[13:14], v18 offset0:92 offset1:211
	ds_read2_b32 v[35:36], v19 offset0:74 offset1:193
	;; [unrolled: 1-line block ×3, first 2 shown]
	ds_read2_b32 v[37:38], v16 offset1:119
	ds_read2_b32 v[17:18], v17 offset0:110 offset1:229
	ds_read2_b32 v[39:40], v21 offset0:38 offset1:157
	ds_read_u16 v8, v16 offset:1430
	ds_read2_b32 v[23:24], v23 offset0:20 offset1:139
	ds_read2_b32 v[41:42], v22 offset0:130 offset1:249
	ds_read_b32 v43, v16 offset:7616
	s_waitcnt lgkmcnt(9)
	v_lshrrev_b32_e32 v15, 16, v13
	v_lshrrev_b32_e32 v16, 16, v14
	s_waitcnt lgkmcnt(8)
	v_lshrrev_b32_e32 v44, 16, v35
	s_waitcnt lgkmcnt(6)
	;; [unrolled: 2-line block ×3, first 2 shown]
	v_lshrrev_b32_e32 v22, 16, v17
	v_lshrrev_b32_e32 v46, 16, v19
	;; [unrolled: 1-line block ×4, first 2 shown]
	s_waitcnt lgkmcnt(4)
	v_lshrrev_b32_e32 v49, 16, v39
	v_lshrrev_b32_e32 v50, 16, v40
	s_waitcnt lgkmcnt(1)
	v_lshrrev_b32_e32 v55, 16, v41
	s_waitcnt vmcnt(3)
	v_mul_f16_sdwa v51, v5, v17 dst_sel:DWORD dst_unused:UNUSED_PAD src0_sel:WORD_1 src1_sel:DWORD
	v_mul_f16_sdwa v26, v5, v22 dst_sel:DWORD dst_unused:UNUSED_PAD src0_sel:WORD_1 src1_sel:DWORD
	;; [unrolled: 1-line block ×4, first 2 shown]
	v_mul_f16_sdwa v52, v8, v6 dst_sel:DWORD dst_unused:UNUSED_PAD src0_sel:DWORD src1_sel:WORD_1
	v_fmac_f16_e32 v51, v5, v22
	v_fma_f16 v54, v5, v17, -v26
	v_mul_f16_sdwa v5, v15, v7 dst_sel:DWORD dst_unused:UNUSED_PAD src0_sel:DWORD src1_sel:WORD_1
	v_fmac_f16_e32 v48, v4, v21
	v_fma_f16 v38, v4, v38, -v53
	s_waitcnt vmcnt(2)
	v_mul_f16_sdwa v4, v16, v9 dst_sel:DWORD dst_unused:UNUSED_PAD src0_sel:DWORD src1_sel:WORD_1
	v_mul_f16_sdwa v25, v6, v18 dst_sel:DWORD dst_unused:UNUSED_PAD src0_sel:WORD_1 src1_sel:DWORD
	v_fma_f16 v22, v13, v7, -v5
	v_mul_f16_sdwa v5, v44, v10 dst_sel:DWORD dst_unused:UNUSED_PAD src0_sel:DWORD src1_sel:WORD_1
	v_fma_f16 v26, v6, v18, -v52
	v_mul_f16_sdwa v21, v13, v7 dst_sel:DWORD dst_unused:UNUSED_PAD src0_sel:DWORD src1_sel:WORD_1
	v_mul_f16_sdwa v17, v14, v9 dst_sel:DWORD dst_unused:UNUSED_PAD src0_sel:DWORD src1_sel:WORD_1
	v_fma_f16 v18, v14, v9, -v4
	v_fma_f16 v14, v35, v10, -v5
	v_mul_f16_sdwa v5, v46, v12 dst_sel:DWORD dst_unused:UNUSED_PAD src0_sel:DWORD src1_sel:WORD_1
	v_fmac_f16_e32 v25, v8, v6
	v_lshrrev_b32_e32 v52, 16, v23
	v_fmac_f16_e32 v21, v15, v7
	v_lshrrev_b32_e32 v53, 16, v24
	v_mul_f16_sdwa v13, v35, v10 dst_sel:DWORD dst_unused:UNUSED_PAD src0_sel:DWORD src1_sel:WORD_1
	v_mul_f16_sdwa v4, v45, v11 dst_sel:DWORD dst_unused:UNUSED_PAD src0_sel:DWORD src1_sel:WORD_1
	s_waitcnt vmcnt(1)
	v_mul_f16_sdwa v7, v47, v27 dst_sel:DWORD dst_unused:UNUSED_PAD src0_sel:DWORD src1_sel:WORD_1
	v_fma_f16 v6, v19, v12, -v5
	v_mul_f16_sdwa v5, v20, v27 dst_sel:DWORD dst_unused:UNUSED_PAD src0_sel:DWORD src1_sel:WORD_1
	v_mul_f16_sdwa v8, v36, v11 dst_sel:DWORD dst_unused:UNUSED_PAD src0_sel:DWORD src1_sel:WORD_1
	v_fmac_f16_e32 v13, v44, v10
	v_fma_f16 v10, v36, v11, -v4
	v_mul_f16_sdwa v4, v19, v12 dst_sel:DWORD dst_unused:UNUSED_PAD src0_sel:DWORD src1_sel:WORD_1
	s_waitcnt lgkmcnt(0)
	v_lshrrev_b32_e32 v35, 16, v43
	v_fma_f16 v7, v20, v27, -v7
	v_fmac_f16_e32 v5, v47, v27
	v_mul_f16_sdwa v20, v52, v30 dst_sel:DWORD dst_unused:UNUSED_PAD src0_sel:DWORD src1_sel:WORD_1
	s_waitcnt vmcnt(0)
	v_mul_f16_sdwa v27, v53, v31 dst_sel:DWORD dst_unused:UNUSED_PAD src0_sel:DWORD src1_sel:WORD_1
	v_fmac_f16_e32 v8, v45, v11
	v_fmac_f16_e32 v4, v46, v12
	v_mul_f16_sdwa v12, v49, v28 dst_sel:DWORD dst_unused:UNUSED_PAD src0_sel:DWORD src1_sel:WORD_1
	v_mul_f16_sdwa v11, v39, v28 dst_sel:DWORD dst_unused:UNUSED_PAD src0_sel:DWORD src1_sel:WORD_1
	;; [unrolled: 1-line block ×3, first 2 shown]
	v_fma_f16 v20, v23, v30, -v20
	v_mul_f16_sdwa v23, v24, v31 dst_sel:DWORD dst_unused:UNUSED_PAD src0_sel:DWORD src1_sel:WORD_1
	v_fma_f16 v24, v24, v31, -v27
	v_mul_f16_sdwa v27, v35, v34 dst_sel:DWORD dst_unused:UNUSED_PAD src0_sel:DWORD src1_sel:WORD_1
	v_fma_f16 v12, v39, v28, -v12
	v_fmac_f16_e32 v11, v49, v28
	v_mul_f16_sdwa v28, v43, v34 dst_sel:DWORD dst_unused:UNUSED_PAD src0_sel:DWORD src1_sel:WORD_1
	v_fmac_f16_e32 v23, v53, v31
	v_fma_f16 v27, v43, v34, -v27
	v_fmac_f16_e32 v17, v16, v9
	v_lshrrev_b32_e32 v9, 16, v42
	v_fmac_f16_e32 v28, v35, v34
	v_mul_f16_sdwa v16, v50, v29 dst_sel:DWORD dst_unused:UNUSED_PAD src0_sel:DWORD src1_sel:WORD_1
	v_add_f16_e32 v36, v38, v27
	v_sub_f16_e32 v49, v38, v27
	v_add_f16_e32 v38, v38, v37
	v_sub_f16_e32 v31, v48, v28
	v_add_f16_e32 v53, v48, v28
	v_add_f16_sdwa v48, v48, v37 dst_sel:DWORD dst_unused:UNUSED_PAD src0_sel:DWORD src1_sel:WORD_1
	v_mul_f16_sdwa v15, v40, v29 dst_sel:DWORD dst_unused:UNUSED_PAD src0_sel:DWORD src1_sel:WORD_1
	v_add_f16_e32 v38, v38, v54
	v_fma_f16 v16, v40, v29, -v16
	v_fmac_f16_e32 v19, v52, v30
	v_add_f16_e32 v48, v48, v51
	v_fmac_f16_e32 v15, v50, v29
	v_add_f16_e32 v38, v38, v26
	v_mul_f16_sdwa v29, v55, v32 dst_sel:DWORD dst_unused:UNUSED_PAD src0_sel:DWORD src1_sel:WORD_1
	v_mul_f16_sdwa v30, v41, v32 dst_sel:DWORD dst_unused:UNUSED_PAD src0_sel:DWORD src1_sel:WORD_1
	;; [unrolled: 1-line block ×4, first 2 shown]
	v_mul_f16_e32 v39, 0xb5c8, v31
	v_add_f16_e32 v48, v48, v25
	v_add_f16_e32 v38, v38, v22
	v_fma_f16 v29, v41, v32, -v29
	v_fmac_f16_e32 v30, v55, v32
	v_fma_f16 v32, v42, v33, -v34
	v_mul_f16_e32 v34, 0xb964, v31
	v_fmac_f16_e32 v35, v9, v33
	v_fma_f16 v9, v36, 0x3b76, -v39
	v_mul_f16_e32 v33, 0xbb29, v31
	v_mul_f16_e32 v41, 0xbbf7, v31
	;; [unrolled: 1-line block ×14, first 2 shown]
	v_add_f16_e32 v48, v48, v21
	v_add_f16_e32 v38, v38, v18
	v_fmac_f16_e32 v39, 0x3b76, v36
	v_fma_f16 v40, v36, 0x39e9, -v34
	v_fmac_f16_e32 v34, 0x39e9, v36
	v_fma_f16 v42, v36, 0x3722, -v33
	;; [unrolled: 2-line block ×7, first 2 shown]
	v_fmac_f16_e32 v31, 0xbbdd, v36
	v_fmamk_f16 v36, v53, 0x3b76, v55
	v_fma_f16 v55, v53, 0x3b76, -v55
	v_fmamk_f16 v59, v53, 0x39e9, v57
	v_fma_f16 v57, v53, 0x39e9, -v57
	;; [unrolled: 2-line block ×8, first 2 shown]
	v_add_f16_e32 v53, v9, v37
	v_add_f16_e32 v9, v48, v17
	;; [unrolled: 1-line block ×3, first 2 shown]
	v_add_f16_sdwa v48, v55, v37 dst_sel:DWORD dst_unused:UNUSED_PAD src0_sel:DWORD src1_sel:WORD_1
	v_add_f16_sdwa v55, v59, v37 dst_sel:DWORD dst_unused:UNUSED_PAD src0_sel:DWORD src1_sel:WORD_1
	;; [unrolled: 1-line block ×3, first 2 shown]
	v_add_f16_e32 v9, v9, v13
	v_add_f16_e32 v38, v38, v10
	v_add_f16_sdwa v61, v63, v37 dst_sel:DWORD dst_unused:UNUSED_PAD src0_sel:DWORD src1_sel:WORD_1
	v_add_f16_sdwa v63, v64, v37 dst_sel:DWORD dst_unused:UNUSED_PAD src0_sel:DWORD src1_sel:WORD_1
	;; [unrolled: 1-line block ×3, first 2 shown]
	v_add_f16_e32 v9, v9, v8
	v_add_f16_e32 v38, v38, v6
	v_add_f16_sdwa v67, v68, v37 dst_sel:DWORD dst_unused:UNUSED_PAD src0_sel:DWORD src1_sel:WORD_1
	v_add_f16_sdwa v68, v69, v37 dst_sel:DWORD dst_unused:UNUSED_PAD src0_sel:DWORD src1_sel:WORD_1
	v_sub_f16_e32 v69, v51, v35
	v_add_f16_e32 v9, v9, v4
	v_add_f16_e32 v38, v38, v7
	v_add_f16_sdwa v36, v36, v37 dst_sel:DWORD dst_unused:UNUSED_PAD src0_sel:DWORD src1_sel:WORD_1
	v_add_f16_e32 v39, v39, v37
	v_add_f16_e32 v40, v40, v37
	;; [unrolled: 1-line block ×5, first 2 shown]
	v_add_f16_sdwa v57, v57, v37 dst_sel:DWORD dst_unused:UNUSED_PAD src0_sel:DWORD src1_sel:WORD_1
	v_add_f16_e32 v42, v42, v37
	v_add_f16_e32 v9, v9, v11
	v_add_f16_e32 v38, v38, v16
	v_add_f16_e32 v33, v33, v37
	v_add_f16_sdwa v58, v58, v37 dst_sel:DWORD dst_unused:UNUSED_PAD src0_sel:DWORD src1_sel:WORD_1
	v_add_f16_e32 v44, v44, v37
	v_add_f16_e32 v9, v9, v15
	v_add_f16_e32 v38, v38, v20
	v_add_f16_e32 v41, v41, v37
	;; [unrolled: 5-line block ×5, first 2 shown]
	v_add_f16_sdwa v66, v66, v37 dst_sel:DWORD dst_unused:UNUSED_PAD src0_sel:DWORD src1_sel:WORD_1
	v_add_f16_e32 v56, v56, v37
	v_add_f16_e32 v9, v9, v35
	;; [unrolled: 1-line block ×3, first 2 shown]
	v_sub_f16_e32 v38, v54, v32
	v_add_f16_e32 v32, v54, v32
	v_mul_f16_e32 v54, 0xb964, v69
	v_add_f16_sdwa v9, v9, v28 dst_sel:WORD_1 dst_unused:UNUSED_PAD src0_sel:DWORD src1_sel:DWORD
	v_add_f16_e32 v28, v51, v35
	v_mul_f16_e32 v35, 0xb964, v38
	v_add_f16_e32 v31, v31, v37
	v_fma_f16 v51, v32, 0x39e9, -v54
	v_add_f16_sdwa v37, v49, v37 dst_sel:DWORD dst_unused:UNUSED_PAD src0_sel:DWORD src1_sel:WORD_1
	v_or_b32_sdwa v9, v9, v27 dst_sel:DWORD dst_unused:UNUSED_PAD src0_sel:DWORD src1_sel:WORD_0
	v_fmamk_f16 v27, v28, 0x39e9, v35
	v_mul_f16_e32 v49, 0xbbf7, v69
	v_fma_f16 v35, v28, 0x39e9, -v35
	v_add_f16_e32 v51, v51, v53
	v_fmac_f16_e32 v54, 0x39e9, v32
	v_add_f16_e32 v27, v27, v36
	v_fma_f16 v36, v32, 0x2de8, -v49
	v_mul_f16_e32 v53, 0xbbf7, v38
	v_add_f16_e32 v35, v35, v48
	v_mul_f16_e32 v48, 0xba62, v69
	v_add_f16_e32 v39, v54, v39
	v_add_f16_e32 v36, v36, v40
	v_fmamk_f16 v40, v28, 0x2de8, v53
	v_fmac_f16_e32 v49, 0x2de8, v32
	v_fma_f16 v53, v28, 0x2de8, -v53
	v_fma_f16 v54, v32, 0xb8d2, -v48
	v_mul_f16_e32 v70, 0xba62, v38
	v_add_f16_e32 v40, v40, v55
	v_add_f16_e32 v34, v49, v34
	;; [unrolled: 1-line block ×4, first 2 shown]
	v_fmamk_f16 v53, v28, 0xb8d2, v70
	v_mul_f16_e32 v54, 0xb1e1, v69
	v_fmac_f16_e32 v48, 0xb8d2, v32
	v_fma_f16 v55, v28, 0xb8d2, -v70
	v_mul_f16_e32 v57, 0xb1e1, v38
	v_add_f16_e32 v53, v53, v59
	v_fma_f16 v59, v32, 0xbbdd, -v54
	v_add_f16_e32 v33, v48, v33
	v_add_f16_e32 v48, v55, v58
	v_fmamk_f16 v55, v28, 0xbbdd, v57
	v_mul_f16_e32 v58, 0x3836, v69
	v_fmac_f16_e32 v54, 0xbbdd, v32
	v_fma_f16 v57, v28, 0xbbdd, -v57
	v_add_f16_e32 v44, v59, v44
	v_add_f16_e32 v55, v55, v61
	v_fma_f16 v59, v32, 0xbacd, -v58
	v_mul_f16_e32 v61, 0x3836, v38
	v_add_f16_e32 v41, v54, v41
	v_add_f16_e32 v54, v57, v60
	v_mul_f16_e32 v57, 0x3bb2, v69
	v_add_f16_e32 v46, v59, v46
	v_fmamk_f16 v59, v28, 0xbacd, v61
	v_fmac_f16_e32 v58, 0xbacd, v32
	v_fma_f16 v60, v28, 0xbacd, -v61
	v_fma_f16 v61, v32, 0xb461, -v57
	v_mul_f16_e32 v70, 0x3bb2, v38
	v_add_f16_e32 v59, v59, v63
	v_add_f16_e32 v43, v58, v43
	;; [unrolled: 1-line block ×4, first 2 shown]
	v_fmamk_f16 v60, v28, 0xb461, v70
	v_fmac_f16_e32 v57, 0xb461, v32
	v_mul_f16_e32 v61, 0x3b29, v69
	v_mul_f16_e32 v62, 0x3b29, v38
	v_fma_f16 v63, v28, 0xb461, -v70
	v_add_f16_e32 v60, v60, v64
	v_add_f16_e32 v45, v57, v45
	v_fma_f16 v57, v32, 0x3722, -v61
	v_fmamk_f16 v64, v28, 0x3722, v62
	v_add_f16_e32 v63, v63, v65
	v_fmac_f16_e32 v61, 0x3722, v32
	v_mul_f16_e32 v65, 0x35c8, v69
	v_mul_f16_e32 v38, 0x35c8, v38
	v_fma_f16 v62, v28, 0x3722, -v62
	v_add_f16_e32 v52, v57, v52
	v_add_f16_e32 v57, v64, v67
	;; [unrolled: 1-line block ×3, first 2 shown]
	v_fma_f16 v61, v32, 0x3b76, -v65
	v_fmac_f16_e32 v65, 0x3b76, v32
	v_fmamk_f16 v32, v28, 0x3b76, v38
	v_sub_f16_e32 v64, v25, v30
	v_fma_f16 v28, v28, 0x3b76, -v38
	v_add_f16_e32 v38, v62, v66
	v_sub_f16_e32 v62, v26, v29
	v_add_f16_e32 v26, v26, v29
	v_mul_f16_e32 v29, 0xbb29, v64
	v_add_f16_e32 v25, v25, v30
	v_add_f16_e32 v56, v61, v56
	v_mul_f16_e32 v30, 0xbb29, v62
	v_add_f16_e32 v31, v65, v31
	v_fma_f16 v61, v26, 0x3722, -v29
	v_add_f16_e32 v28, v28, v37
	v_mul_f16_e32 v65, 0xba62, v64
	v_fmamk_f16 v37, v25, 0x3722, v30
	v_fma_f16 v30, v25, 0x3722, -v30
	v_add_f16_e32 v51, v61, v51
	v_fmac_f16_e32 v29, 0x3722, v26
	v_mul_f16_e32 v61, 0xba62, v62
	v_add_f16_e32 v27, v37, v27
	v_fma_f16 v37, v26, 0xb8d2, -v65
	v_add_f16_e32 v30, v30, v35
	v_mul_f16_e32 v35, 0x31e1, v64
	v_add_f16_e32 v29, v29, v39
	v_fmac_f16_e32 v65, 0xb8d2, v26
	v_add_f16_e32 v36, v37, v36
	v_fmamk_f16 v37, v25, 0xb8d2, v61
	v_fma_f16 v39, v25, 0xb8d2, -v61
	v_fma_f16 v61, v26, 0xbbdd, -v35
	v_mul_f16_e32 v66, 0x31e1, v62
	v_add_f16_e32 v34, v65, v34
	v_add_f16_e32 v37, v37, v40
	;; [unrolled: 1-line block ×4, first 2 shown]
	v_fmamk_f16 v42, v25, 0xbbdd, v66
	v_mul_f16_e32 v49, 0x3bb2, v64
	v_fmac_f16_e32 v35, 0xbbdd, v26
	v_fma_f16 v61, v25, 0xbbdd, -v66
	v_mul_f16_e32 v65, 0x3bb2, v62
	v_add_f16_e32 v42, v42, v53
	v_fma_f16 v53, v26, 0xb461, -v49
	v_add_f16_e32 v33, v35, v33
	v_add_f16_e32 v35, v61, v48
	v_fmamk_f16 v48, v25, 0xb461, v65
	v_mul_f16_e32 v61, 0x3964, v64
	v_add_f16_e32 v44, v53, v44
	v_fmac_f16_e32 v49, 0xb461, v26
	v_fma_f16 v53, v25, 0xb461, -v65
	v_add_f16_e32 v48, v48, v55
	v_fma_f16 v55, v26, 0x39e9, -v61
	v_mul_f16_e32 v65, 0x3964, v62
	v_add_f16_e32 v41, v49, v41
	v_add_f16_e32 v49, v53, v54
	v_mul_f16_e32 v53, 0xb5c8, v64
	v_add_f16_e32 v46, v55, v46
	v_fmamk_f16 v54, v25, 0x39e9, v65
	v_fmac_f16_e32 v61, 0x39e9, v26
	v_fma_f16 v55, v25, 0x39e9, -v65
	v_mul_f16_e32 v66, 0xb5c8, v62
	v_fma_f16 v65, v26, 0x3b76, -v53
	v_add_f16_e32 v54, v54, v59
	v_add_f16_e32 v43, v61, v43
	;; [unrolled: 1-line block ×3, first 2 shown]
	v_fmamk_f16 v58, v25, 0x3b76, v66
	v_fmac_f16_e32 v53, 0x3b76, v26
	v_mul_f16_e32 v59, 0xbbf7, v64
	v_mul_f16_e32 v61, 0xbbf7, v62
	;; [unrolled: 1-line block ×3, first 2 shown]
	v_add_f16_e32 v58, v58, v60
	v_add_f16_e32 v45, v53, v45
	v_fma_f16 v53, v26, 0x2de8, -v59
	v_fmamk_f16 v60, v25, 0x2de8, v61
	v_fmac_f16_e32 v59, 0x2de8, v26
	v_add_f16_e32 v50, v65, v50
	v_fma_f16 v65, v25, 0x3b76, -v66
	v_add_f16_e32 v52, v53, v52
	v_add_f16_e32 v53, v60, v57
	v_mul_f16_e32 v57, 0xb836, v62
	v_add_f16_e32 v47, v59, v47
	v_fma_f16 v59, v26, 0xbacd, -v64
	v_fma_f16 v60, v25, 0x2de8, -v61
	v_fmac_f16_e32 v64, 0xbacd, v26
	v_fmamk_f16 v26, v25, 0xbacd, v57
	v_sub_f16_e32 v61, v21, v23
	v_fma_f16 v25, v25, 0xbacd, -v57
	v_add_f16_e32 v57, v22, v24
	v_sub_f16_e32 v22, v22, v24
	v_add_f16_e32 v32, v32, v68
	v_mul_f16_e32 v24, 0xbbf7, v61
	v_add_f16_e32 v21, v21, v23
	v_add_f16_e32 v56, v59, v56
	v_mul_f16_e32 v23, 0xbbf7, v22
	v_add_f16_e32 v26, v26, v32
	v_fma_f16 v32, v57, 0x2de8, -v24
	v_add_f16_e32 v25, v25, v28
	v_mul_f16_e32 v28, 0xb1e1, v61
	v_fmamk_f16 v59, v21, 0x2de8, v23
	v_fmac_f16_e32 v24, 0x2de8, v57
	v_add_f16_e32 v32, v32, v51
	v_fma_f16 v23, v21, 0x2de8, -v23
	v_fma_f16 v51, v57, 0xbbdd, -v28
	v_add_f16_e32 v27, v59, v27
	v_mul_f16_e32 v59, 0xb1e1, v22
	v_add_f16_e32 v24, v24, v29
	v_add_f16_e32 v23, v23, v30
	;; [unrolled: 1-line block ×3, first 2 shown]
	v_mul_f16_e32 v30, 0x3bb2, v61
	v_fmamk_f16 v36, v21, 0xbbdd, v59
	v_fma_f16 v51, v21, 0xbbdd, -v59
	v_mul_f16_e32 v59, 0x3bb2, v22
	v_add_f16_e32 v38, v60, v38
	v_fmac_f16_e32 v28, 0xbbdd, v57
	v_fma_f16 v60, v57, 0xb461, -v30
	v_add_f16_e32 v36, v36, v37
	v_fmamk_f16 v37, v21, 0xb461, v59
	v_fmac_f16_e32 v30, 0xb461, v57
	v_add_f16_e32 v28, v28, v34
	v_add_f16_e32 v34, v51, v39
	;; [unrolled: 1-line block ×3, first 2 shown]
	v_mul_f16_e32 v40, 0x35c8, v61
	v_fma_f16 v51, v21, 0xb461, -v59
	v_add_f16_e32 v37, v37, v42
	v_mul_f16_e32 v42, 0x35c8, v22
	v_add_f16_e32 v30, v30, v33
	v_fma_f16 v59, v57, 0x3b76, -v40
	v_add_f16_e32 v33, v51, v35
	v_mul_f16_e32 v35, 0xbb29, v61
	v_fmamk_f16 v51, v21, 0x3b76, v42
	v_fmac_f16_e32 v40, 0x3b76, v57
	v_add_f16_e32 v44, v59, v44
	v_fma_f16 v42, v21, 0x3b76, -v42
	v_fma_f16 v59, v57, 0x3722, -v35
	v_add_f16_e32 v48, v51, v48
	v_mul_f16_e32 v51, 0xbb29, v22
	v_add_f16_e32 v40, v40, v41
	v_add_f16_e32 v41, v42, v49
	v_add_f16_e32 v42, v59, v46
	v_mul_f16_e32 v46, 0xb836, v61
	v_fmamk_f16 v49, v21, 0x3722, v51
	v_fmac_f16_e32 v35, 0x3722, v57
	v_fma_f16 v51, v21, 0x3722, -v51
	v_mul_f16_e32 v59, 0xb836, v22
	v_add_f16_e32 v63, v65, v63
	v_fma_f16 v60, v57, 0xbacd, -v46
	v_add_f16_e32 v49, v49, v54
	v_add_f16_e32 v35, v35, v43
	;; [unrolled: 1-line block ×3, first 2 shown]
	v_mul_f16_e32 v54, 0x3a62, v61
	v_fmac_f16_e32 v46, 0xbacd, v57
	v_fma_f16 v55, v21, 0xbacd, -v59
	v_fmamk_f16 v51, v21, 0xbacd, v59
	v_add_f16_e32 v50, v60, v50
	v_fma_f16 v59, v57, 0xb8d2, -v54
	v_add_f16_e32 v45, v46, v45
	v_add_f16_e32 v46, v55, v63
	v_mul_f16_e32 v55, 0x3964, v61
	v_add_f16_e32 v51, v51, v58
	v_mul_f16_e32 v58, 0x3a62, v22
	v_add_f16_e32 v52, v59, v52
	v_fmac_f16_e32 v54, 0xb8d2, v57
	v_fma_f16 v59, v57, 0x39e9, -v55
	v_mul_f16_e32 v22, 0x3964, v22
	v_fmamk_f16 v60, v21, 0xb8d2, v58
	v_fma_f16 v58, v21, 0xb8d2, -v58
	v_add_f16_e32 v47, v54, v47
	v_add_f16_e32 v54, v59, v56
	v_sub_f16_e32 v56, v17, v19
	v_add_f16_e32 v59, v18, v20
	v_sub_f16_e32 v18, v18, v20
	v_add_f16_e32 v31, v64, v31
	v_add_f16_e32 v38, v58, v38
	v_fmamk_f16 v58, v21, 0x39e9, v22
	v_fmac_f16_e32 v55, 0x39e9, v57
	v_mul_f16_e32 v20, 0xbbb2, v56
	v_fma_f16 v21, v21, 0x39e9, -v22
	v_add_f16_e32 v17, v17, v19
	v_mul_f16_e32 v19, 0xbbb2, v18
	v_add_f16_e32 v22, v58, v26
	v_fma_f16 v26, v59, 0xb461, -v20
	v_add_f16_e32 v31, v55, v31
	v_add_f16_e32 v21, v21, v25
	v_fmamk_f16 v25, v17, 0xb461, v19
	v_mul_f16_e32 v55, 0x3836, v56
	v_add_f16_e32 v26, v26, v32
	v_fmac_f16_e32 v20, 0xb461, v59
	v_fma_f16 v19, v17, 0xb461, -v19
	v_add_f16_e32 v25, v25, v27
	v_fma_f16 v27, v59, 0xbacd, -v55
	v_mul_f16_e32 v32, 0x3836, v18
	v_add_f16_e32 v20, v20, v24
	v_add_f16_e32 v19, v19, v23
	v_mul_f16_e32 v23, 0x3964, v56
	v_add_f16_e32 v24, v27, v29
	v_fmamk_f16 v27, v17, 0xbacd, v32
	v_fma_f16 v29, v17, 0xbacd, -v32
	v_mul_f16_e32 v57, 0x3964, v18
	v_fmac_f16_e32 v55, 0xbacd, v59
	v_fma_f16 v32, v59, 0x39e9, -v23
	v_add_f16_e32 v27, v27, v36
	v_add_f16_e32 v29, v29, v34
	v_fmamk_f16 v34, v17, 0x39e9, v57
	v_mul_f16_e32 v36, 0xbb29, v56
	v_add_f16_e32 v28, v55, v28
	v_add_f16_e32 v32, v32, v39
	v_fmac_f16_e32 v23, 0x39e9, v59
	v_fma_f16 v39, v17, 0x39e9, -v57
	v_mul_f16_e32 v55, 0xbb29, v18
	v_add_f16_e32 v34, v34, v37
	v_fma_f16 v37, v59, 0x3722, -v36
	v_add_f16_e32 v23, v23, v30
	v_add_f16_e32 v30, v39, v33
	v_fmamk_f16 v33, v17, 0x3722, v55
	v_mul_f16_e32 v39, 0xb1e1, v56
	v_add_f16_e32 v37, v37, v44
	v_fmac_f16_e32 v36, 0x3722, v59
	v_fma_f16 v44, v17, 0x3722, -v55
	v_add_f16_e32 v33, v33, v48
	v_fma_f16 v48, v59, 0xbbdd, -v39
	v_mul_f16_e32 v55, 0xb1e1, v18
	v_add_f16_e32 v36, v36, v40
	v_add_f16_e32 v40, v44, v41
	v_mul_f16_e32 v41, 0x3bf7, v56
	v_add_f16_e32 v42, v48, v42
	v_fmamk_f16 v44, v17, 0xbbdd, v55
	v_fmac_f16_e32 v39, 0xbbdd, v59
	v_fma_f16 v48, v17, 0xbbdd, -v55
	v_fma_f16 v55, v59, 0x2de8, -v41
	v_mul_f16_e32 v57, 0x3bf7, v18
	v_add_f16_e32 v44, v44, v49
	v_add_f16_e32 v35, v39, v35
	;; [unrolled: 1-line block ×4, first 2 shown]
	v_fmac_f16_e32 v41, 0x2de8, v59
	v_fma_f16 v49, v17, 0x2de8, -v57
	v_mul_f16_e32 v50, 0xb5c8, v56
	v_fmamk_f16 v48, v17, 0x2de8, v57
	v_mul_f16_e32 v55, 0xb5c8, v18
	v_add_f16_e32 v41, v41, v45
	v_add_f16_e32 v45, v49, v46
	v_fma_f16 v46, v59, 0x3b76, -v50
	v_fmac_f16_e32 v50, 0x3b76, v59
	v_add_f16_e32 v53, v60, v53
	v_add_f16_e32 v48, v48, v51
	v_fmamk_f16 v49, v17, 0x3b76, v55
	v_mul_f16_e32 v51, 0xba62, v56
	v_fma_f16 v55, v17, 0x3b76, -v55
	v_add_f16_e32 v47, v50, v47
	v_mul_f16_e32 v18, 0xba62, v18
	v_sub_f16_e32 v50, v13, v15
	v_add_f16_e32 v46, v46, v52
	v_add_f16_e32 v49, v49, v53
	v_fma_f16 v52, v59, 0xb8d2, -v51
	v_add_f16_e32 v38, v55, v38
	v_add_f16_e32 v53, v14, v16
	v_mul_f16_e32 v55, 0xba62, v50
	v_sub_f16_e32 v14, v14, v16
	v_fma_f16 v16, v17, 0xb8d2, -v18
	v_add_f16_e32 v52, v52, v54
	v_fmac_f16_e32 v51, 0xb8d2, v59
	v_fmamk_f16 v54, v17, 0xb8d2, v18
	v_add_f16_e32 v13, v13, v15
	v_fma_f16 v17, v53, 0xb8d2, -v55
	v_mul_f16_e32 v18, 0xba62, v14
	v_add_f16_e32 v16, v16, v21
	v_mul_f16_e32 v21, 0x3bb2, v50
	v_add_f16_e32 v15, v54, v22
	v_add_f16_e32 v22, v51, v31
	;; [unrolled: 1-line block ×3, first 2 shown]
	v_fmamk_f16 v26, v13, 0xb8d2, v18
	v_fma_f16 v18, v13, 0xb8d2, -v18
	v_fma_f16 v31, v53, 0xb461, -v21
	v_mul_f16_e32 v51, 0x3bb2, v14
	v_fmac_f16_e32 v21, 0xb461, v53
	v_add_f16_e32 v25, v26, v25
	v_add_f16_e32 v18, v18, v19
	;; [unrolled: 1-line block ×3, first 2 shown]
	v_fmamk_f16 v24, v13, 0xb461, v51
	v_mul_f16_e32 v26, 0xb5c8, v50
	v_fma_f16 v31, v13, 0xb461, -v51
	v_mul_f16_e32 v51, 0xb5c8, v14
	v_add_f16_e32 v21, v21, v28
	v_add_f16_e32 v24, v24, v27
	v_fma_f16 v27, v53, 0x3b76, -v26
	v_add_f16_e32 v28, v31, v29
	v_fmamk_f16 v29, v13, 0x3b76, v51
	v_mul_f16_e32 v31, 0xb836, v50
	v_fmac_f16_e32 v26, 0x3b76, v53
	v_add_f16_e32 v27, v27, v32
	v_fma_f16 v32, v13, 0x3b76, -v51
	v_add_f16_e32 v29, v29, v34
	v_fma_f16 v34, v53, 0xbacd, -v31
	v_mul_f16_e32 v51, 0xb836, v14
	v_add_f16_e32 v23, v26, v23
	v_add_f16_e32 v26, v32, v30
	v_mul_f16_e32 v30, 0x3bf7, v50
	v_add_f16_e32 v32, v34, v37
	v_fmamk_f16 v34, v13, 0xbacd, v51
	v_fmac_f16_e32 v31, 0xbacd, v53
	v_fma_f16 v37, v13, 0xbacd, -v51
	v_fma_f16 v51, v53, 0x2de8, -v30
	v_mul_f16_e32 v54, 0x3bf7, v14
	v_add_f16_e32 v33, v34, v33
	v_add_f16_e32 v31, v31, v36
	;; [unrolled: 1-line block ×4, first 2 shown]
	v_fmamk_f16 v37, v13, 0x2de8, v54
	v_mul_f16_e32 v40, 0xb964, v50
	v_fmac_f16_e32 v30, 0x2de8, v53
	v_fma_f16 v42, v13, 0x2de8, -v54
	v_mul_f16_e32 v51, 0xb964, v14
	v_add_f16_e32 v37, v37, v44
	v_fma_f16 v44, v53, 0x39e9, -v40
	v_add_f16_e32 v30, v30, v35
	v_add_f16_e32 v35, v42, v39
	v_fmamk_f16 v39, v13, 0x39e9, v51
	v_mul_f16_e32 v42, 0xb1e1, v50
	v_add_f16_e32 v43, v44, v43
	v_fmac_f16_e32 v40, 0x39e9, v53
	v_fma_f16 v44, v13, 0x39e9, -v51
	v_add_f16_e32 v39, v39, v48
	v_fma_f16 v48, v53, 0xbbdd, -v42
	v_mul_f16_e32 v51, 0xb1e1, v14
	v_add_f16_e32 v40, v40, v41
	v_add_f16_e32 v41, v44, v45
	v_fmac_f16_e32 v42, 0xbbdd, v53
	v_add_f16_e32 v44, v48, v46
	v_fmamk_f16 v45, v13, 0xbbdd, v51
	v_mul_f16_e32 v46, 0x3b29, v50
	v_fma_f16 v48, v13, 0xbbdd, -v51
	v_add_f16_e32 v42, v42, v47
	v_sub_f16_e32 v47, v8, v11
	v_add_f16_e32 v45, v45, v49
	v_fma_f16 v49, v53, 0x3722, -v46
	v_mul_f16_e32 v14, 0x3b29, v14
	v_add_f16_e32 v38, v48, v38
	v_mul_f16_e32 v50, 0xb836, v47
	v_fmac_f16_e32 v46, 0x3722, v53
	v_add_f16_e32 v48, v49, v52
	v_add_f16_e32 v49, v10, v12
	v_sub_f16_e32 v10, v10, v12
	v_fmamk_f16 v12, v13, 0x3722, v14
	v_fma_f16 v13, v13, 0x3722, -v14
	v_add_f16_e32 v8, v8, v11
	v_fma_f16 v11, v49, 0xbacd, -v50
	v_mul_f16_e32 v14, 0xb836, v10
	v_add_f16_e32 v12, v12, v15
	v_add_f16_e32 v15, v46, v22
	;; [unrolled: 1-line block ×4, first 2 shown]
	v_fmamk_f16 v16, v8, 0xbacd, v14
	v_mul_f16_e32 v17, 0x3b29, v47
	v_fma_f16 v14, v8, 0xbacd, -v14
	v_mul_f16_e32 v22, 0x3b29, v10
	v_fmac_f16_e32 v55, 0xb8d2, v53
	v_add_f16_e32 v16, v16, v25
	v_fma_f16 v25, v49, 0x3722, -v17
	v_add_f16_e32 v14, v14, v18
	v_fmamk_f16 v18, v8, 0x3722, v22
	v_mul_f16_e32 v46, 0xbbf7, v47
	v_fmac_f16_e32 v17, 0x3722, v49
	v_fma_f16 v22, v8, 0x3722, -v22
	v_add_f16_e32 v20, v55, v20
	v_fmac_f16_e32 v50, 0xbacd, v49
	v_add_f16_e32 v19, v25, v19
	v_add_f16_e32 v18, v18, v24
	v_fma_f16 v24, v49, 0x2de8, -v46
	v_mul_f16_e32 v25, 0xbbf7, v10
	v_add_f16_e32 v17, v17, v21
	v_add_f16_e32 v21, v22, v28
	v_mul_f16_e32 v22, 0x3a62, v47
	v_add_f16_e32 v20, v50, v20
	v_add_f16_e32 v24, v24, v27
	v_fmamk_f16 v27, v8, 0x2de8, v25
	v_fmac_f16_e32 v46, 0x2de8, v49
	v_fma_f16 v25, v8, 0x2de8, -v25
	v_fma_f16 v28, v49, 0xb8d2, -v22
	v_mul_f16_e32 v50, 0x3a62, v10
	v_add_f16_e32 v27, v27, v29
	v_add_f16_e32 v23, v46, v23
	;; [unrolled: 1-line block ×4, first 2 shown]
	v_fmamk_f16 v28, v8, 0xb8d2, v50
	v_mul_f16_e32 v29, 0xb5c8, v47
	v_fmac_f16_e32 v22, 0xb8d2, v49
	v_fma_f16 v32, v8, 0xb8d2, -v50
	v_mul_f16_e32 v46, 0xb5c8, v10
	v_add_f16_e32 v28, v28, v33
	v_fma_f16 v33, v49, 0x3b76, -v29
	v_add_f16_e32 v22, v22, v31
	v_add_f16_e32 v31, v32, v34
	v_fmamk_f16 v32, v8, 0x3b76, v46
	v_mul_f16_e32 v34, 0xb1e1, v47
	v_add_f16_e32 v33, v33, v36
	v_fmac_f16_e32 v29, 0x3b76, v49
	v_fma_f16 v36, v8, 0x3b76, -v46
	v_add_f16_e32 v32, v32, v37
	v_fma_f16 v37, v49, 0xbbdd, -v34
	v_mul_f16_e32 v46, 0xb1e1, v10
	v_add_f16_e32 v29, v29, v30
	v_add_f16_e32 v30, v36, v35
	v_mul_f16_e32 v35, 0x3964, v47
	v_add_f16_e32 v36, v37, v43
	v_fmamk_f16 v37, v8, 0xbbdd, v46
	v_fma_f16 v43, v8, 0xbbdd, -v46
	v_mul_f16_e32 v50, 0x3964, v10
	v_fmac_f16_e32 v34, 0xbbdd, v49
	v_fma_f16 v46, v49, 0x39e9, -v35
	v_add_f16_e32 v37, v37, v39
	v_add_f16_e32 v39, v43, v41
	v_fmamk_f16 v41, v8, 0x39e9, v50
	v_mul_f16_e32 v43, 0xbbb2, v47
	v_add_f16_e32 v34, v34, v40
	v_add_f16_e32 v40, v46, v44
	v_fmac_f16_e32 v35, 0x39e9, v49
	v_fma_f16 v44, v8, 0x39e9, -v50
	v_add_f16_e32 v41, v41, v45
	v_fma_f16 v45, v49, 0xb461, -v43
	v_mul_f16_e32 v10, 0xbbb2, v10
	v_add_f16_e32 v35, v35, v42
	v_add_f16_e32 v38, v44, v38
	v_sub_f16_e32 v42, v4, v5
	v_add_f16_e32 v44, v45, v48
	v_add_f16_e32 v45, v6, v7
	v_sub_f16_e32 v6, v6, v7
	v_fmamk_f16 v46, v8, 0xb461, v10
	v_mul_f16_e32 v7, 0xb1e1, v42
	v_fmac_f16_e32 v43, 0xb461, v49
	v_fma_f16 v8, v8, 0xb461, -v10
	v_add_f16_e32 v10, v4, v5
	v_mul_f16_e32 v4, 0xb1e1, v6
	v_fma_f16 v5, v45, 0xbbdd, -v7
	v_add_f16_e32 v15, v43, v15
	v_add_f16_e32 v8, v8, v13
	v_mul_f16_e32 v13, 0x35c8, v42
	v_fmamk_f16 v43, v10, 0xbbdd, v4
	v_add_f16_e32 v11, v5, v11
	v_fmac_f16_e32 v7, 0xbbdd, v45
	v_fma_f16 v4, v10, 0xbbdd, -v4
	v_fma_f16 v5, v45, 0x3b76, -v13
	v_add_f16_e32 v16, v43, v16
	v_mul_f16_e32 v43, 0x35c8, v6
	v_add_f16_e32 v20, v7, v20
	v_add_f16_e32 v14, v4, v14
	;; [unrolled: 1-line block ×3, first 2 shown]
	v_mul_f16_e32 v4, 0xb836, v42
	v_fmamk_f16 v5, v10, 0x3b76, v43
	v_fma_f16 v7, v10, 0x3b76, -v43
	v_mul_f16_e32 v43, 0xb836, v6
	v_add_f16_e32 v12, v46, v12
	v_fmac_f16_e32 v13, 0x3b76, v45
	v_fma_f16 v46, v45, 0xbacd, -v4
	v_add_f16_e32 v18, v5, v18
	v_add_f16_e32 v21, v7, v21
	v_fmamk_f16 v5, v10, 0xbacd, v43
	v_mul_f16_e32 v7, 0x3964, v42
	v_fmac_f16_e32 v4, 0xbacd, v45
	v_add_f16_e32 v17, v13, v17
	v_add_f16_e32 v13, v46, v24
	v_fma_f16 v24, v10, 0xbacd, -v43
	v_add_f16_e32 v27, v5, v27
	v_mul_f16_e32 v5, 0x3964, v6
	v_fma_f16 v43, v45, 0x39e9, -v7
	v_add_f16_e32 v23, v4, v23
	v_mul_f16_e32 v4, 0xba62, v42
	v_add_f16_e32 v24, v24, v25
	v_fmamk_f16 v25, v10, 0x39e9, v5
	v_add_f16_e32 v26, v43, v26
	v_fma_f16 v5, v10, 0x39e9, -v5
	v_fma_f16 v43, v45, 0xb8d2, -v4
	v_fmac_f16_e32 v7, 0x39e9, v45
	v_add_f16_e32 v25, v25, v28
	v_mul_f16_e32 v28, 0xba62, v6
	v_add_f16_e32 v31, v5, v31
	v_add_f16_e32 v33, v43, v33
	v_mul_f16_e32 v5, 0x3b29, v42
	v_fmac_f16_e32 v4, 0xb8d2, v45
	v_mul_f16_e32 v43, 0x3b29, v6
	v_add_f16_e32 v22, v7, v22
	v_fmamk_f16 v7, v10, 0xb8d2, v28
	v_fma_f16 v28, v10, 0xb8d2, -v28
	v_fma_f16 v46, v45, 0x3722, -v5
	v_add_f16_e32 v29, v4, v29
	v_fmamk_f16 v4, v10, 0x3722, v43
	v_fmac_f16_e32 v5, 0x3722, v45
	v_add_f16_e32 v28, v28, v30
	v_add_f16_e32 v30, v46, v36
	v_mul_f16_e32 v36, 0xbbb2, v6
	v_add_f16_e32 v37, v4, v37
	v_fma_f16 v4, v10, 0x3722, -v43
	v_add_f16_e32 v32, v7, v32
	v_mul_f16_e32 v7, 0xbbb2, v42
	v_fmamk_f16 v46, v10, 0xb461, v36
	v_add_f16_e32 v34, v5, v34
	v_add_f16_e32 v39, v4, v39
	v_add_co_ci_u32_e64 v4, null, 0, 0, s1
	v_add_f16_e32 v41, v46, v41
	v_mul_lo_u32 v47, v1, s5
	v_mul_f16_e32 v6, 0x3bf7, v6
	v_mul_lo_u32 v46, v4, s4
	v_mad_u64_u32 v[4:5], null, v1, s4, 0
	v_fma_f16 v43, v45, 0xb461, -v7
	v_fmac_f16_e32 v7, 0xb461, v45
	v_fma_f16 v3, v10, 0x2de8, -v6
	v_mul_lo_u32 v1, v0, s0
	s_lshl_b64 s[4:5], s[10:11], 2
	v_add_f16_e32 v40, v43, v40
	v_add3_u32 v5, v5, v47, v46
	v_add_f16_e32 v35, v7, v35
	v_mul_f16_e32 v7, 0x3bf7, v42
	v_add_f16_e32 v0, v3, v8
	v_fma_f16 v36, v10, 0xb461, -v36
	v_lshlrev_b64 v[3:4], 2, v[4:5]
	v_fmamk_f16 v43, v10, 0x2de8, v6
	v_fma_f16 v42, v45, 0x2de8, -v7
	s_add_u32 s1, s2, s4
	s_mul_i32 s0, s0, 17
	s_addc_u32 s4, s3, s5
	s_lshl_b64 s[2:3], s[12:13], 2
	v_lshlrev_b64 v[5:6], 2, v[1:2]
	v_add_nc_u32_e32 v1, s0, v1
	s_add_u32 s1, s1, s2
	v_add_f16_e32 v36, v36, v38
	v_add_f16_e32 v38, v42, v44
	;; [unrolled: 1-line block ×3, first 2 shown]
	s_addc_u32 s2, s4, s3
	v_add_co_u32 v43, vcc_lo, s1, v3
	v_fmac_f16_e32 v7, 0x2de8, v45
	v_add_co_ci_u32_e32 v44, vcc_lo, s2, v4, vcc_lo
	v_lshlrev_b64 v[3:4], 2, v[1:2]
	v_add_nc_u32_e32 v1, s0, v1
	v_add_f16_e32 v15, v7, v15
	v_add_co_u32 v5, vcc_lo, v43, v5
	v_add_co_ci_u32_e32 v6, vcc_lo, v44, v6, vcc_lo
	v_lshlrev_b64 v[7:8], 2, v[1:2]
	v_add_nc_u32_e32 v1, s0, v1
	v_add_co_u32 v3, vcc_lo, v43, v3
	v_pack_b32_f16 v16, v11, v16
	v_add_co_ci_u32_e32 v4, vcc_lo, v44, v4, vcc_lo
	v_lshlrev_b64 v[10:11], 2, v[1:2]
	v_add_nc_u32_e32 v1, s0, v1
	v_add_co_u32 v7, vcc_lo, v43, v7
	v_add_co_ci_u32_e32 v8, vcc_lo, v44, v8, vcc_lo
	v_pack_b32_f16 v18, v19, v18
	v_pack_b32_f16 v19, v13, v27
	v_lshlrev_b64 v[12:13], 2, v[1:2]
	v_add_nc_u32_e32 v1, s0, v1
	v_add_co_u32 v10, vcc_lo, v43, v10
	v_add_co_ci_u32_e32 v11, vcc_lo, v44, v11, vcc_lo
	global_store_dword v[5:6], v9, off
	global_store_dword v[3:4], v16, off
	;; [unrolled: 1-line block ×4, first 2 shown]
	v_lshlrev_b64 v[3:4], 2, v[1:2]
	v_add_nc_u32_e32 v1, s0, v1
	v_add_co_u32 v5, vcc_lo, v43, v12
	v_add_co_ci_u32_e32 v6, vcc_lo, v44, v13, vcc_lo
	v_lshlrev_b64 v[7:8], 2, v[1:2]
	v_add_nc_u32_e32 v1, s0, v1
	v_add_co_u32 v3, vcc_lo, v43, v3
	v_add_co_ci_u32_e32 v4, vcc_lo, v44, v4, vcc_lo
	v_lshlrev_b64 v[9:10], 2, v[1:2]
	v_add_nc_u32_e32 v1, s0, v1
	v_add_co_u32 v7, vcc_lo, v43, v7
	v_pack_b32_f16 v13, v26, v25
	v_add_co_ci_u32_e32 v8, vcc_lo, v44, v8, vcc_lo
	v_lshlrev_b64 v[11:12], 2, v[1:2]
	v_add_nc_u32_e32 v1, s0, v1
	v_pack_b32_f16 v16, v33, v32
	v_add_co_u32 v9, vcc_lo, v43, v9
	v_pack_b32_f16 v18, v30, v37
	v_add_co_ci_u32_e32 v10, vcc_lo, v44, v10, vcc_lo
	v_pack_b32_f16 v19, v40, v41
	global_store_dword v[5:6], v13, off
	global_store_dword v[3:4], v16, off
	;; [unrolled: 1-line block ×4, first 2 shown]
	v_lshlrev_b64 v[3:4], 2, v[1:2]
	v_add_nc_u32_e32 v1, s0, v1
	v_add_co_u32 v5, vcc_lo, v43, v11
	v_add_co_ci_u32_e32 v6, vcc_lo, v44, v12, vcc_lo
	v_lshlrev_b64 v[7:8], 2, v[1:2]
	v_add_nc_u32_e32 v1, s0, v1
	v_add_co_u32 v3, vcc_lo, v43, v3
	v_add_co_ci_u32_e32 v4, vcc_lo, v44, v4, vcc_lo
	v_lshlrev_b64 v[9:10], 2, v[1:2]
	v_add_nc_u32_e32 v1, s0, v1
	v_add_co_u32 v7, vcc_lo, v43, v7
	v_pack_b32_f16 v13, v38, v42
	v_add_co_ci_u32_e32 v8, vcc_lo, v44, v8, vcc_lo
	v_lshlrev_b64 v[11:12], 2, v[1:2]
	v_add_nc_u32_e32 v1, s0, v1
	v_pack_b32_f16 v0, v15, v0
	v_add_co_u32 v9, vcc_lo, v43, v9
	v_pack_b32_f16 v15, v35, v36
	v_add_co_ci_u32_e32 v10, vcc_lo, v44, v10, vcc_lo
	v_pack_b32_f16 v16, v34, v39
	global_store_dword v[5:6], v13, off
	global_store_dword v[3:4], v0, off
	;; [unrolled: 1-line block ×4, first 2 shown]
	v_lshlrev_b64 v[3:4], 2, v[1:2]
	v_add_nc_u32_e32 v1, s0, v1
	v_add_co_u32 v5, vcc_lo, v43, v11
	v_add_co_ci_u32_e32 v6, vcc_lo, v44, v12, vcc_lo
	v_lshlrev_b64 v[7:8], 2, v[1:2]
	v_add_nc_u32_e32 v1, s0, v1
	v_add_co_u32 v3, vcc_lo, v43, v3
	v_add_co_ci_u32_e32 v4, vcc_lo, v44, v4, vcc_lo
	;; [unrolled: 4-line block ×3, first 2 shown]
	v_lshlrev_b64 v[0:1], 2, v[1:2]
	v_add_co_u32 v9, vcc_lo, v43, v9
	v_pack_b32_f16 v11, v29, v28
	v_pack_b32_f16 v12, v22, v31
	v_add_co_ci_u32_e32 v10, vcc_lo, v44, v10, vcc_lo
	v_pack_b32_f16 v13, v23, v24
	v_add_co_u32 v0, vcc_lo, v43, v0
	v_pack_b32_f16 v2, v17, v21
	v_add_co_ci_u32_e32 v1, vcc_lo, v44, v1, vcc_lo
	v_pack_b32_f16 v14, v20, v14
	global_store_dword v[5:6], v11, off
	global_store_dword v[3:4], v12, off
	;; [unrolled: 1-line block ×5, first 2 shown]
	s_endpgm
	.section	.rodata,"a",@progbits
	.p2align	6, 0x0
	.amdhsa_kernel fft_rtc_fwd_len289_factors_17_17_wgs_119_tpt_17_half_op_CI_CI_sbrc_z_xy_aligned_dirReg
		.amdhsa_group_segment_fixed_size 0
		.amdhsa_private_segment_fixed_size 0
		.amdhsa_kernarg_size 104
		.amdhsa_user_sgpr_count 6
		.amdhsa_user_sgpr_private_segment_buffer 1
		.amdhsa_user_sgpr_dispatch_ptr 0
		.amdhsa_user_sgpr_queue_ptr 0
		.amdhsa_user_sgpr_kernarg_segment_ptr 1
		.amdhsa_user_sgpr_dispatch_id 0
		.amdhsa_user_sgpr_flat_scratch_init 0
		.amdhsa_user_sgpr_private_segment_size 0
		.amdhsa_wavefront_size32 1
		.amdhsa_uses_dynamic_stack 0
		.amdhsa_system_sgpr_private_segment_wavefront_offset 0
		.amdhsa_system_sgpr_workgroup_id_x 1
		.amdhsa_system_sgpr_workgroup_id_y 0
		.amdhsa_system_sgpr_workgroup_id_z 0
		.amdhsa_system_sgpr_workgroup_info 0
		.amdhsa_system_vgpr_workitem_id 0
		.amdhsa_next_free_vgpr 76
		.amdhsa_next_free_sgpr 26
		.amdhsa_reserve_vcc 1
		.amdhsa_reserve_flat_scratch 0
		.amdhsa_float_round_mode_32 0
		.amdhsa_float_round_mode_16_64 0
		.amdhsa_float_denorm_mode_32 3
		.amdhsa_float_denorm_mode_16_64 3
		.amdhsa_dx10_clamp 1
		.amdhsa_ieee_mode 1
		.amdhsa_fp16_overflow 0
		.amdhsa_workgroup_processor_mode 1
		.amdhsa_memory_ordered 1
		.amdhsa_forward_progress 0
		.amdhsa_shared_vgpr_count 0
		.amdhsa_exception_fp_ieee_invalid_op 0
		.amdhsa_exception_fp_denorm_src 0
		.amdhsa_exception_fp_ieee_div_zero 0
		.amdhsa_exception_fp_ieee_overflow 0
		.amdhsa_exception_fp_ieee_underflow 0
		.amdhsa_exception_fp_ieee_inexact 0
		.amdhsa_exception_int_div_zero 0
	.end_amdhsa_kernel
	.text
.Lfunc_end0:
	.size	fft_rtc_fwd_len289_factors_17_17_wgs_119_tpt_17_half_op_CI_CI_sbrc_z_xy_aligned_dirReg, .Lfunc_end0-fft_rtc_fwd_len289_factors_17_17_wgs_119_tpt_17_half_op_CI_CI_sbrc_z_xy_aligned_dirReg
                                        ; -- End function
	.section	.AMDGPU.csdata,"",@progbits
; Kernel info:
; codeLenInByte = 15164
; NumSgprs: 28
; NumVgprs: 76
; ScratchSize: 0
; MemoryBound: 0
; FloatMode: 240
; IeeeMode: 1
; LDSByteSize: 0 bytes/workgroup (compile time only)
; SGPRBlocks: 3
; VGPRBlocks: 9
; NumSGPRsForWavesPerEU: 28
; NumVGPRsForWavesPerEU: 76
; Occupancy: 12
; WaveLimiterHint : 1
; COMPUTE_PGM_RSRC2:SCRATCH_EN: 0
; COMPUTE_PGM_RSRC2:USER_SGPR: 6
; COMPUTE_PGM_RSRC2:TRAP_HANDLER: 0
; COMPUTE_PGM_RSRC2:TGID_X_EN: 1
; COMPUTE_PGM_RSRC2:TGID_Y_EN: 0
; COMPUTE_PGM_RSRC2:TGID_Z_EN: 0
; COMPUTE_PGM_RSRC2:TIDIG_COMP_CNT: 0
	.text
	.p2alignl 6, 3214868480
	.fill 48, 4, 3214868480
	.type	__hip_cuid_bd9681672bc61132,@object ; @__hip_cuid_bd9681672bc61132
	.section	.bss,"aw",@nobits
	.globl	__hip_cuid_bd9681672bc61132
__hip_cuid_bd9681672bc61132:
	.byte	0                               ; 0x0
	.size	__hip_cuid_bd9681672bc61132, 1

	.ident	"AMD clang version 19.0.0git (https://github.com/RadeonOpenCompute/llvm-project roc-6.4.0 25133 c7fe45cf4b819c5991fe208aaa96edf142730f1d)"
	.section	".note.GNU-stack","",@progbits
	.addrsig
	.addrsig_sym __hip_cuid_bd9681672bc61132
	.amdgpu_metadata
---
amdhsa.kernels:
  - .args:
      - .actual_access:  read_only
        .address_space:  global
        .offset:         0
        .size:           8
        .value_kind:     global_buffer
      - .offset:         8
        .size:           8
        .value_kind:     by_value
      - .actual_access:  read_only
        .address_space:  global
        .offset:         16
        .size:           8
        .value_kind:     global_buffer
      - .actual_access:  read_only
        .address_space:  global
        .offset:         24
        .size:           8
        .value_kind:     global_buffer
      - .actual_access:  read_only
        .address_space:  global
        .offset:         32
        .size:           8
        .value_kind:     global_buffer
      - .offset:         40
        .size:           8
        .value_kind:     by_value
      - .actual_access:  read_only
        .address_space:  global
        .offset:         48
        .size:           8
        .value_kind:     global_buffer
      - .actual_access:  read_only
        .address_space:  global
        .offset:         56
        .size:           8
        .value_kind:     global_buffer
      - .offset:         64
        .size:           4
        .value_kind:     by_value
      - .actual_access:  read_only
        .address_space:  global
        .offset:         72
        .size:           8
        .value_kind:     global_buffer
      - .actual_access:  read_only
        .address_space:  global
        .offset:         80
        .size:           8
        .value_kind:     global_buffer
      - .actual_access:  read_only
        .address_space:  global
        .offset:         88
        .size:           8
        .value_kind:     global_buffer
      - .actual_access:  write_only
        .address_space:  global
        .offset:         96
        .size:           8
        .value_kind:     global_buffer
    .group_segment_fixed_size: 0
    .kernarg_segment_align: 8
    .kernarg_segment_size: 104
    .language:       OpenCL C
    .language_version:
      - 2
      - 0
    .max_flat_workgroup_size: 119
    .name:           fft_rtc_fwd_len289_factors_17_17_wgs_119_tpt_17_half_op_CI_CI_sbrc_z_xy_aligned_dirReg
    .private_segment_fixed_size: 0
    .sgpr_count:     28
    .sgpr_spill_count: 0
    .symbol:         fft_rtc_fwd_len289_factors_17_17_wgs_119_tpt_17_half_op_CI_CI_sbrc_z_xy_aligned_dirReg.kd
    .uniform_work_group_size: 1
    .uses_dynamic_stack: false
    .vgpr_count:     76
    .vgpr_spill_count: 0
    .wavefront_size: 32
    .workgroup_processor_mode: 1
amdhsa.target:   amdgcn-amd-amdhsa--gfx1030
amdhsa.version:
  - 1
  - 2
...

	.end_amdgpu_metadata
